;; amdgpu-corpus repo=ROCm/rocFFT kind=compiled arch=gfx906 opt=O3
	.text
	.amdgcn_target "amdgcn-amd-amdhsa--gfx906"
	.amdhsa_code_object_version 6
	.protected	bluestein_single_fwd_len624_dim1_sp_op_CI_CI ; -- Begin function bluestein_single_fwd_len624_dim1_sp_op_CI_CI
	.globl	bluestein_single_fwd_len624_dim1_sp_op_CI_CI
	.p2align	8
	.type	bluestein_single_fwd_len624_dim1_sp_op_CI_CI,@function
bluestein_single_fwd_len624_dim1_sp_op_CI_CI: ; @bluestein_single_fwd_len624_dim1_sp_op_CI_CI
; %bb.0:
	s_load_dwordx4 s[0:3], s[4:5], 0x28
	v_mul_u32_u24_e32 v1, 0x4ed, v0
	v_add_u32_sdwa v44, s6, v1 dst_sel:DWORD dst_unused:UNUSED_PAD src0_sel:DWORD src1_sel:WORD_1
	v_mov_b32_e32 v45, 0
	s_waitcnt lgkmcnt(0)
	v_cmp_gt_u64_e32 vcc, s[0:1], v[44:45]
	s_and_saveexec_b64 s[0:1], vcc
	s_cbranch_execz .LBB0_15
; %bb.1:
	s_load_dwordx2 s[12:13], s[4:5], 0x0
	s_load_dwordx2 s[14:15], s[4:5], 0x38
	v_mov_b32_e32 v2, 52
	v_mul_lo_u16_sdwa v1, v1, v2 dst_sel:DWORD dst_unused:UNUSED_PAD src0_sel:WORD_1 src1_sel:DWORD
	v_sub_u16_e32 v67, v0, v1
	v_cmp_gt_u16_e32 vcc, 48, v67
	v_lshlrev_b32_e32 v68, 3, v67
	s_and_saveexec_b64 s[6:7], vcc
	s_cbranch_execz .LBB0_3
; %bb.2:
	s_load_dwordx2 s[0:1], s[4:5], 0x18
	v_or_b32_e32 v18, 0xc0, v67
	v_mov_b32_e32 v39, 0x300
	s_waitcnt lgkmcnt(0)
	s_load_dwordx4 s[8:11], s[0:1], 0x0
	s_waitcnt lgkmcnt(0)
	v_mad_u64_u32 v[0:1], s[0:1], s10, v44, 0
	v_mad_u64_u32 v[2:3], s[0:1], s8, v67, 0
	s_mul_i32 s10, s9, 0x300
	v_mad_u64_u32 v[4:5], s[0:1], s11, v44, v[1:2]
	v_mad_u64_u32 v[5:6], s[0:1], s9, v67, v[3:4]
	v_mov_b32_e32 v1, v4
	v_lshlrev_b64 v[0:1], 3, v[0:1]
	v_mov_b32_e32 v3, v5
	v_mov_b32_e32 v6, s3
	v_lshlrev_b64 v[2:3], 3, v[2:3]
	v_add_co_u32_e64 v43, s[0:1], s2, v0
	v_addc_co_u32_e64 v55, s[0:1], v6, v1, s[0:1]
	v_add_co_u32_e64 v0, s[0:1], v43, v2
	v_addc_co_u32_e64 v1, s[0:1], v55, v3, s[0:1]
	v_mov_b32_e32 v2, s13
	v_add_co_u32_e64 v54, s[0:1], s12, v68
	v_addc_co_u32_e64 v56, s[0:1], 0, v2, s[0:1]
	s_mul_i32 s0, s9, 0x180
	s_mul_hi_u32 s1, s8, 0x180
	s_add_i32 s3, s1, s0
	s_mul_i32 s2, s8, 0x180
	v_mov_b32_e32 v3, s3
	v_add_co_u32_e64 v2, s[0:1], s2, v0
	v_addc_co_u32_e64 v3, s[0:1], v1, v3, s[0:1]
	v_mov_b32_e32 v5, s3
	v_add_co_u32_e64 v4, s[0:1], s2, v2
	v_addc_co_u32_e64 v5, s[0:1], v3, v5, s[0:1]
	;; [unrolled: 3-line block ×3, first 2 shown]
	v_mad_u64_u32 v[8:9], s[0:1], s8, v18, 0
	global_load_dwordx2 v[10:11], v[0:1], off
	global_load_dwordx2 v[12:13], v[2:3], off
	;; [unrolled: 1-line block ×4, first 2 shown]
	v_mad_u64_u32 v[5:6], s[0:1], s8, v39, v[6:7]
	v_mov_b32_e32 v0, v9
	v_mad_u64_u32 v[0:1], s[0:1], s9, v18, v[0:1]
	global_load_dwordx2 v[1:2], v68, s[12:13]
	global_load_dwordx2 v[3:4], v68, s[12:13] offset:384
	global_load_dwordx2 v[18:19], v68, s[12:13] offset:768
	;; [unrolled: 1-line block ×3, first 2 shown]
	v_add_u32_e32 v6, s10, v6
	v_mov_b32_e32 v9, v0
	v_lshlrev_b64 v[8:9], 3, v[8:9]
	global_load_dwordx2 v[22:23], v[5:6], off
	v_add_co_u32_e64 v7, s[0:1], v43, v8
	v_addc_co_u32_e64 v8, s[0:1], v55, v9, s[0:1]
	global_load_dwordx2 v[7:8], v[7:8], off
	v_mov_b32_e32 v0, s3
	v_add_co_u32_e64 v5, s[0:1], s2, v5
	v_or_b32_e32 v9, 0x180, v67
	v_addc_co_u32_e64 v6, s[0:1], v6, v0, s[0:1]
	v_mad_u64_u32 v[26:27], s[0:1], s8, v9, 0
	global_load_dwordx2 v[24:25], v[5:6], off
	v_add_co_u32_e64 v5, s[0:1], s2, v5
	v_addc_co_u32_e64 v6, s[0:1], v6, v0, s[0:1]
	v_mov_b32_e32 v0, v27
	global_load_dwordx2 v[28:29], v[5:6], off
	v_mad_u64_u32 v[5:6], s[0:1], s8, v39, v[5:6]
	v_add_u32_e32 v6, s10, v6
	s_waitcnt vmcnt(7)
	v_mad_u64_u32 v[30:31], s[0:1], s9, v9, v[0:1]
	global_load_dwordx2 v[31:32], v68, s[12:13] offset:1536
	global_load_dwordx2 v[33:34], v68, s[12:13] offset:1920
	;; [unrolled: 1-line block ×4, first 2 shown]
	global_load_dwordx2 v[39:40], v[5:6], off
	v_mov_b32_e32 v27, v30
	v_lshlrev_b64 v[26:27], 3, v[26:27]
	v_mov_b32_e32 v0, s3
	v_add_co_u32_e64 v26, s[0:1], v43, v26
	v_addc_co_u32_e64 v27, s[0:1], v55, v27, s[0:1]
	v_add_co_u32_e64 v5, s[0:1], s2, v5
	v_or_b32_e32 v9, 0x240, v67
	v_addc_co_u32_e64 v6, s[0:1], v6, v0, s[0:1]
	v_mad_u64_u32 v[51:52], s[0:1], s8, v9, 0
	global_load_dwordx2 v[26:27], v[26:27], off
	s_nop 0
	global_load_dwordx2 v[41:42], v[5:6], off
	global_load_dwordx2 v[45:46], v68, s[12:13] offset:3072
	global_load_dwordx2 v[47:48], v68, s[12:13] offset:3456
	;; [unrolled: 1-line block ×3, first 2 shown]
	v_add_co_u32_e64 v5, s[0:1], s2, v5
	v_addc_co_u32_e64 v6, s[0:1], v6, v0, s[0:1]
	v_mov_b32_e32 v0, v52
	v_mad_u64_u32 v[52:53], s[0:1], s9, v9, v[0:1]
	s_movk_i32 s2, 0x1000
	v_add_co_u32_e64 v53, s[0:1], s2, v54
	v_lshlrev_b64 v[51:52], 3, v[51:52]
	v_addc_co_u32_e64 v54, s[0:1], 0, v56, s[0:1]
	global_load_dwordx2 v[5:6], v[5:6], off
	v_add_co_u32_e64 v51, s[0:1], v43, v51
	global_load_dwordx2 v[53:54], v[53:54], off offset:128
	v_addc_co_u32_e64 v52, s[0:1], v55, v52, s[0:1]
	v_lshlrev_b32_e32 v0, 3, v9
	global_load_dwordx2 v[51:52], v[51:52], off
	s_nop 0
	global_load_dwordx2 v[55:56], v0, s[12:13]
	v_mul_f32_e32 v0, v11, v2
	v_mul_f32_e32 v2, v10, v2
	v_fmac_f32_e32 v0, v10, v1
	v_fma_f32 v1, v11, v1, -v2
	s_waitcnt vmcnt(20)
	v_mul_f32_e32 v2, v13, v4
	v_mul_f32_e32 v4, v12, v4
	v_fmac_f32_e32 v2, v12, v3
	v_fma_f32 v3, v13, v3, -v4
	ds_write2_b64 v68, v[0:1], v[2:3] offset1:48
	s_waitcnt vmcnt(19)
	v_mul_f32_e32 v0, v15, v19
	v_mul_f32_e32 v1, v14, v19
	s_waitcnt vmcnt(18)
	v_mul_f32_e32 v2, v17, v21
	v_mul_f32_e32 v3, v16, v21
	v_fmac_f32_e32 v0, v14, v18
	v_fma_f32 v1, v15, v18, -v1
	v_fmac_f32_e32 v2, v16, v20
	v_fma_f32 v3, v17, v20, -v3
	ds_write2_b64 v68, v[0:1], v[2:3] offset0:96 offset1:144
	v_add_u32_e32 v4, 0x800, v68
	s_waitcnt vmcnt(13)
	v_mul_f32_e32 v0, v8, v32
	v_mul_f32_e32 v1, v7, v32
	s_waitcnt vmcnt(12)
	v_mul_f32_e32 v2, v23, v34
	v_mul_f32_e32 v3, v22, v34
	v_fmac_f32_e32 v0, v7, v31
	v_fma_f32 v1, v8, v31, -v1
	v_fmac_f32_e32 v2, v22, v33
	v_fma_f32 v3, v23, v33, -v3
	ds_write2_b64 v68, v[0:1], v[2:3] offset0:192 offset1:240
	s_waitcnt vmcnt(11)
	v_mul_f32_e32 v0, v25, v36
	v_mul_f32_e32 v1, v24, v36
	s_waitcnt vmcnt(10)
	v_mul_f32_e32 v2, v29, v38
	v_mul_f32_e32 v3, v28, v38
	v_fmac_f32_e32 v0, v24, v35
	v_fma_f32 v1, v25, v35, -v1
	v_fmac_f32_e32 v2, v28, v37
	v_fma_f32 v3, v29, v37, -v3
	ds_write2_b64 v4, v[0:1], v[2:3] offset0:32 offset1:80
	;; [unrolled: 11-line block ×3, first 2 shown]
	s_waitcnt vmcnt(4)
	v_mul_f32_e32 v0, v42, v50
	v_mul_f32_e32 v1, v41, v50
	v_fmac_f32_e32 v0, v41, v49
	v_fma_f32 v1, v42, v49, -v1
	v_add_u32_e32 v4, 0xc00, v68
	s_waitcnt vmcnt(2)
	v_mul_f32_e32 v2, v6, v54
	v_mul_f32_e32 v3, v5, v54
	v_fmac_f32_e32 v2, v5, v53
	v_fma_f32 v3, v6, v53, -v3
	ds_write2_b64 v4, v[0:1], v[2:3] offset0:96 offset1:144
	s_waitcnt vmcnt(0)
	v_mul_f32_e32 v0, v52, v56
	v_mul_f32_e32 v1, v51, v56
	v_fmac_f32_e32 v0, v51, v55
	v_fma_f32 v1, v52, v55, -v1
	ds_write_b64 v68, v[0:1] offset:4608
.LBB0_3:
	s_or_b64 exec, exec, s[6:7]
	s_load_dwordx2 s[2:3], s[4:5], 0x20
	s_load_dwordx2 s[0:1], s[4:5], 0x8
	v_mov_b32_e32 v0, 0
	v_mov_b32_e32 v1, 0
	s_waitcnt lgkmcnt(0)
	; wave barrier
	s_waitcnt lgkmcnt(0)
                                        ; implicit-def: $vgpr6
                                        ; implicit-def: $vgpr14
                                        ; implicit-def: $vgpr24
                                        ; implicit-def: $vgpr10
                                        ; implicit-def: $vgpr18
                                        ; implicit-def: $vgpr22
	s_and_saveexec_b64 s[4:5], vcc
	s_cbranch_execz .LBB0_5
; %bb.4:
	ds_read2_b64 v[0:3], v68 offset1:48
	ds_read2_b64 v[20:23], v68 offset0:96 offset1:144
	ds_read2_b64 v[16:19], v68 offset0:192 offset1:240
	v_add_u32_e32 v8, 0x800, v68
	v_add_u32_e32 v12, 0xc00, v68
	ds_read2_b64 v[4:7], v8 offset0:32 offset1:80
	ds_read2_b64 v[8:11], v8 offset0:128 offset1:176
	;; [unrolled: 1-line block ×3, first 2 shown]
	ds_read_b64 v[24:25], v68 offset:4608
.LBB0_5:
	s_or_b64 exec, exec, s[4:5]
	s_waitcnt lgkmcnt(0)
	v_sub_f32_e32 v51, v3, v25
	v_mul_f32_e32 v40, 0xbeedf032, v51
	v_sub_f32_e32 v54, v21, v15
	v_add_f32_e32 v28, v24, v2
	v_sub_f32_e32 v57, v2, v24
	v_mov_b32_e32 v26, v40
	v_mul_f32_e32 v41, 0xbf52af12, v54
	v_add_f32_e32 v30, v25, v3
	s_mov_b32 s6, 0x3f62ad3f
	v_mul_f32_e32 v42, 0xbeedf032, v57
	v_fmac_f32_e32 v26, 0x3f62ad3f, v28
	v_add_f32_e32 v29, v14, v20
	v_sub_f32_e32 v58, v20, v14
	v_mov_b32_e32 v31, v41
	v_add_f32_e32 v26, v26, v0
	v_fma_f32 v27, v30, s6, -v42
	v_add_f32_e32 v32, v15, v21
	s_mov_b32 s7, 0x3f116cb1
	v_mul_f32_e32 v48, 0xbf52af12, v58
	v_fmac_f32_e32 v31, 0x3f116cb1, v29
	v_sub_f32_e32 v56, v23, v13
	v_add_f32_e32 v27, v27, v1
	v_add_f32_e32 v26, v31, v26
	v_fma_f32 v31, v32, s7, -v48
	v_mul_f32_e32 v43, 0xbf7e222b, v56
	v_add_f32_e32 v27, v31, v27
	v_add_f32_e32 v31, v12, v22
	v_sub_f32_e32 v61, v22, v12
	v_mov_b32_e32 v33, v43
	v_add_f32_e32 v34, v13, v23
	s_mov_b32 s8, 0x3df6dbef
	v_mul_f32_e32 v49, 0xbf7e222b, v61
	v_fmac_f32_e32 v33, 0x3df6dbef, v31
	v_sub_f32_e32 v59, v17, v11
	v_add_f32_e32 v26, v33, v26
	v_fma_f32 v33, v34, s8, -v49
	v_mul_f32_e32 v47, 0xbf6f5d39, v59
	v_add_f32_e32 v27, v33, v27
	v_add_f32_e32 v33, v10, v16
	v_sub_f32_e32 v63, v16, v10
	v_mov_b32_e32 v35, v47
	v_add_f32_e32 v36, v11, v17
	s_mov_b32 s9, 0xbeb58ec6
	v_mul_f32_e32 v52, 0xbf6f5d39, v63
	v_fmac_f32_e32 v35, 0xbeb58ec6, v33
	v_sub_f32_e32 v62, v19, v9
	;; [unrolled: 12-line block ×3, first 2 shown]
	v_add_f32_e32 v26, v37, v26
	v_fma_f32 v37, v38, s10, -v55
	v_mul_f32_e32 v53, 0xbe750f2a, v64
	v_add_f32_e32 v27, v37, v27
	v_add_f32_e32 v37, v6, v4
	v_mov_b32_e32 v39, v53
	v_fmac_f32_e32 v39, 0xbf788fa5, v37
	v_sub_f32_e32 v66, v4, v6
	s_mov_b32 s11, 0xbf788fa5
	v_add_f32_e32 v45, v39, v26
	v_add_f32_e32 v39, v7, v5
	v_mul_f32_e32 v60, 0xbe750f2a, v66
	v_fma_f32 v26, v39, s11, -v60
	v_add_f32_e32 v46, v26, v27
	v_mul_lo_u16_e32 v69, 13, v67
	s_waitcnt lgkmcnt(0)
	; wave barrier
	s_and_saveexec_b64 s[4:5], vcc
	s_cbranch_execz .LBB0_7
; %bb.6:
	v_mul_f32_e32 v70, 0x3df6dbef, v30
	v_mov_b32_e32 v26, v70
	v_mul_f32_e32 v72, 0xbf788fa5, v32
	v_fmac_f32_e32 v26, 0x3f7e222b, v57
	v_mov_b32_e32 v27, v72
	v_add_f32_e32 v26, v26, v1
	v_fmac_f32_e32 v27, 0x3e750f2a, v58
	v_mul_f32_e32 v73, 0xbeb58ec6, v34
	v_add_f32_e32 v26, v27, v26
	v_mov_b32_e32 v27, v73
	v_fmac_f32_e32 v27, 0xbf6f5d39, v61
	v_mul_f32_e32 v74, 0x3f62ad3f, v36
	v_add_f32_e32 v26, v27, v26
	v_mov_b32_e32 v27, v74
	;; [unrolled: 4-line block ×5, first 2 shown]
	v_mul_f32_e32 v77, 0xbe750f2a, v54
	v_fmac_f32_e32 v26, 0x3df6dbef, v28
	v_mov_b32_e32 v78, v77
	v_add_f32_e32 v26, v26, v0
	v_fmac_f32_e32 v78, 0xbf788fa5, v29
	v_add_f32_e32 v26, v78, v26
	v_mul_f32_e32 v78, 0x3f6f5d39, v56
	v_mov_b32_e32 v79, v78
	v_fmac_f32_e32 v79, 0xbeb58ec6, v31
	v_add_f32_e32 v26, v79, v26
	v_mul_f32_e32 v79, 0x3eedf032, v59
	v_mov_b32_e32 v80, v79
	v_fmac_f32_e32 v80, 0x3f62ad3f, v33
	v_add_f32_e32 v26, v80, v26
	v_add_f32_e32 v2, v2, v0
	v_mul_f32_e32 v80, 0xbf52af12, v62
	v_add_f32_e32 v3, v3, v1
	v_add_f32_e32 v2, v20, v2
	v_mov_b32_e32 v20, v80
	v_mul_f32_e32 v81, 0xbf29c268, v64
	v_add_f32_e32 v3, v21, v3
	v_fmac_f32_e32 v20, 0x3f116cb1, v35
	v_mov_b32_e32 v21, v81
	v_add_f32_e32 v2, v22, v2
	v_add_f32_e32 v20, v20, v26
	v_fmac_f32_e32 v21, 0xbf3f9e67, v37
	v_mul_f32_e32 v22, 0xbeb58ec6, v30
	v_add_f32_e32 v3, v23, v3
	v_add_f32_e32 v26, v21, v20
	v_mov_b32_e32 v20, v22
	v_mul_f32_e32 v23, 0xbf3f9e67, v32
	v_fmac_f32_e32 v20, 0x3f6f5d39, v57
	v_mov_b32_e32 v21, v23
	v_add_f32_e32 v2, v16, v2
	v_mul_f32_e32 v84, 0x3f62ad3f, v34
	v_add_f32_e32 v20, v20, v1
	v_fmac_f32_e32 v21, 0xbf29c268, v58
	v_add_f32_e32 v3, v17, v3
	v_add_f32_e32 v83, v18, v2
	v_mov_b32_e32 v2, v84
	v_mul_f32_e32 v85, 0x3df6dbef, v36
	v_add_f32_e32 v20, v21, v20
	v_add_f32_e32 v82, v19, v3
	v_fmac_f32_e32 v2, 0xbeedf032, v61
	v_mov_b32_e32 v3, v85
	v_add_f32_e32 v2, v2, v20
	v_fmac_f32_e32 v3, 0x3f7e222b, v63
	v_mul_f32_e32 v86, 0xbf788fa5, v38
	v_add_f32_e32 v2, v3, v2
	v_mov_b32_e32 v3, v86
	v_fmac_f32_e32 v3, 0xbe750f2a, v65
	v_mul_f32_e32 v87, 0xbf6f5d39, v51
	v_add_f32_e32 v2, v3, v2
	v_mov_b32_e32 v3, v87
	v_mul_f32_e32 v88, 0x3f29c268, v54
	v_fmac_f32_e32 v3, 0xbeb58ec6, v28
	v_mov_b32_e32 v16, v88
	v_add_f32_e32 v3, v3, v0
	v_fmac_f32_e32 v16, 0xbf3f9e67, v29
	v_mul_f32_e32 v89, 0x3eedf032, v56
	v_add_f32_e32 v3, v16, v3
	v_mov_b32_e32 v16, v89
	v_fmac_f32_e32 v16, 0x3f62ad3f, v31
	v_mul_f32_e32 v90, 0xbf7e222b, v59
	v_add_f32_e32 v3, v16, v3
	v_mov_b32_e32 v16, v90
	;; [unrolled: 4-line block ×6, first 2 shown]
	v_mul_f32_e32 v21, 0x3df6dbef, v32
	v_fmac_f32_e32 v16, 0x3f29c268, v57
	v_mov_b32_e32 v17, v21
	v_add_f32_e32 v16, v16, v1
	v_fmac_f32_e32 v17, 0xbf7e222b, v58
	v_mul_f32_e32 v94, 0x3f116cb1, v34
	v_add_f32_e32 v16, v17, v16
	v_mov_b32_e32 v17, v94
	v_fmac_f32_e32 v17, 0x3f52af12, v61
	v_mul_f32_e32 v95, 0xbf788fa5, v36
	v_add_f32_e32 v16, v17, v16
	v_mov_b32_e32 v17, v95
	;; [unrolled: 4-line block ×4, first 2 shown]
	v_mul_f32_e32 v98, 0x3f7e222b, v54
	v_fmac_f32_e32 v17, 0xbf3f9e67, v28
	v_mov_b32_e32 v18, v98
	v_add_f32_e32 v17, v17, v0
	v_fmac_f32_e32 v18, 0x3df6dbef, v29
	v_mul_f32_e32 v99, 0xbf52af12, v56
	v_add_f32_e32 v17, v18, v17
	v_mov_b32_e32 v18, v99
	v_fmac_f32_e32 v18, 0x3f116cb1, v31
	v_mul_f32_e32 v100, 0x3e750f2a, v59
	v_add_f32_e32 v17, v18, v17
	v_mov_b32_e32 v18, v100
	v_fmac_f32_e32 v18, 0xbf788fa5, v33
	v_mul_f32_e32 v101, 0x3eedf032, v62
	v_fmac_f32_e32 v70, 0xbf7e222b, v57
	v_add_f32_e32 v17, v18, v17
	v_mov_b32_e32 v18, v101
	v_add_f32_e32 v70, v70, v1
	v_fmac_f32_e32 v72, 0xbe750f2a, v58
	v_fmac_f32_e32 v18, 0x3f62ad3f, v35
	v_mul_f32_e32 v102, 0xbeb58ec6, v39
	v_add_f32_e32 v70, v72, v70
	v_fmac_f32_e32 v73, 0x3f6f5d39, v61
	v_fma_f32 v72, v28, s8, -v76
	v_add_f32_e32 v18, v18, v17
	v_mov_b32_e32 v17, v102
	v_add_f32_e32 v70, v73, v70
	v_add_f32_e32 v72, v72, v0
	v_fma_f32 v73, v29, s11, -v77
	v_fmac_f32_e32 v17, 0x3f6f5d39, v66
	v_mul_f32_e32 v103, 0xbf6f5d39, v64
	v_fmac_f32_e32 v74, 0x3eedf032, v63
	v_add_f32_e32 v72, v73, v72
	v_fma_f32 v73, v31, s9, -v78
	v_add_f32_e32 v17, v17, v16
	v_mov_b32_e32 v16, v103
	v_add_f32_e32 v70, v74, v70
	v_fmac_f32_e32 v75, 0xbf52af12, v65
	v_add_f32_e32 v72, v73, v72
	v_fma_f32 v73, v33, s6, -v79
	v_fmac_f32_e32 v16, 0xbeb58ec6, v37
	v_mul_f32_e32 v104, 0xbe750f2a, v57
	v_add_f32_e32 v70, v75, v70
	v_add_f32_e32 v72, v73, v72
	v_fma_f32 v73, v35, s7, -v80
	v_fmac_f32_e32 v71, 0xbf29c268, v66
	v_add_f32_e32 v16, v16, v18
	v_mov_b32_e32 v18, v104
	v_mul_f32_e32 v105, 0x3eedf032, v58
	v_add_f32_e32 v72, v73, v72
	v_add_f32_e32 v71, v71, v70
	v_fma_f32 v70, v37, s10, -v81
	v_fmac_f32_e32 v18, 0xbf788fa5, v30
	v_mov_b32_e32 v19, v105
	v_add_f32_e32 v70, v70, v72
	v_mul_f32_e32 v72, 0xbf52af12, v57
	v_add_f32_e32 v18, v18, v1
	v_fmac_f32_e32 v19, 0x3f62ad3f, v32
	v_mul_f32_e32 v106, 0xbf29c268, v61
	v_fmac_f32_e32 v20, 0xbf29c268, v57
	v_fmac_f32_e32 v21, 0x3f7e222b, v58
	;; [unrolled: 1-line block ×4, first 2 shown]
	v_mov_b32_e32 v57, v72
	v_mul_f32_e32 v58, 0xbf6f5d39, v58
	v_add_f32_e32 v18, v19, v18
	v_mov_b32_e32 v19, v106
	v_fmac_f32_e32 v57, 0x3f116cb1, v30
	v_mov_b32_e32 v73, v58
	v_fmac_f32_e32 v19, 0xbf3f9e67, v34
	v_mul_f32_e32 v107, 0x3f52af12, v63
	v_fmac_f32_e32 v94, 0xbf52af12, v61
	v_fmac_f32_e32 v84, 0x3eedf032, v61
	v_add_f32_e32 v57, v57, v1
	v_fmac_f32_e32 v73, 0xbeb58ec6, v32
	v_mul_f32_e32 v61, 0xbe750f2a, v61
	v_add_f32_e32 v18, v19, v18
	v_mov_b32_e32 v19, v107
	v_add_f32_e32 v57, v73, v57
	v_mov_b32_e32 v73, v61
	v_fmac_f32_e32 v19, 0x3f116cb1, v36
	v_mul_f32_e32 v108, 0xbf6f5d39, v65
	v_fmac_f32_e32 v95, 0x3e750f2a, v63
	v_fmac_f32_e32 v85, 0xbf7e222b, v63
	v_fmac_f32_e32 v73, 0xbf788fa5, v34
	v_mul_f32_e32 v63, 0x3f29c268, v63
	v_add_f32_e32 v18, v19, v18
	v_mov_b32_e32 v19, v108
	v_add_f32_e32 v57, v73, v57
	v_mov_b32_e32 v73, v63
	v_fmac_f32_e32 v19, 0xbeb58ec6, v38
	v_mul_f32_e32 v109, 0xbe750f2a, v51
	v_fmac_f32_e32 v96, 0x3eedf032, v65
	v_fmac_f32_e32 v86, 0x3e750f2a, v65
	;; [unrolled: 1-line block ×3, first 2 shown]
	v_mul_f32_e32 v65, 0x3f7e222b, v65
	v_add_f32_e32 v18, v19, v18
	v_fma_f32 v19, v28, s11, -v109
	v_mul_f32_e32 v110, 0x3eedf032, v54
	v_add_f32_e32 v57, v73, v57
	v_mov_b32_e32 v73, v65
	v_add_f32_e32 v19, v19, v0
	v_fma_f32 v111, v29, s6, -v110
	v_fmac_f32_e32 v73, 0x3df6dbef, v38
	v_mul_f32_e32 v51, 0xbf52af12, v51
	v_add_f32_e32 v19, v111, v19
	v_mul_f32_e32 v111, 0xbf29c268, v56
	v_add_f32_e32 v57, v73, v57
	v_fma_f32 v73, v28, s7, -v51
	v_mul_f32_e32 v54, 0xbf6f5d39, v54
	v_fma_f32 v112, v31, s10, -v111
	v_add_f32_e32 v73, v73, v0
	v_fma_f32 v74, v29, s9, -v54
	v_add_f32_e32 v19, v112, v19
	v_mul_f32_e32 v112, 0x3f52af12, v59
	v_add_f32_e32 v73, v74, v73
	v_mul_f32_e32 v74, 0xbe750f2a, v56
	v_fma_f32 v113, v33, s7, -v112
	v_fma_f32 v56, v31, s11, -v74
	v_mul_f32_e32 v59, 0x3f29c268, v59
	v_add_f32_e32 v19, v113, v19
	v_mul_f32_e32 v113, 0xbf6f5d39, v62
	v_add_f32_e32 v56, v56, v73
	v_fma_f32 v73, v33, s10, -v59
	v_mul_f32_e32 v62, 0x3f7e222b, v62
	v_mul_f32_e32 v115, 0x3f7e222b, v66
	v_fmac_f32_e32 v102, 0xbf6f5d39, v66
	v_fmac_f32_e32 v92, 0x3f52af12, v66
	v_add_f32_e32 v56, v73, v56
	v_fma_f32 v73, v35, s8, -v62
	v_mul_f32_e32 v66, 0x3eedf032, v66
	v_add_f32_e32 v56, v73, v56
	v_mov_b32_e32 v73, v66
	v_mul_f32_e32 v116, 0x3f7e222b, v64
	v_fmac_f32_e32 v73, 0x3f62ad3f, v39
	v_mul_f32_e32 v64, 0x3eedf032, v64
	v_add_f32_e32 v57, v73, v57
	v_fma_f32 v73, v37, s6, -v64
	v_add_f32_e32 v56, v73, v56
	v_mul_f32_e32 v73, 0x3f62ad3f, v30
	v_add_f32_e32 v42, v42, v73
	v_mul_f32_e32 v73, 0x3f116cb1, v32
	v_add_f32_e32 v48, v48, v73
	v_add_f32_e32 v42, v42, v1
	;; [unrolled: 1-line block ×3, first 2 shown]
	v_mul_f32_e32 v48, 0x3df6dbef, v34
	v_add_f32_e32 v4, v4, v83
	v_add_f32_e32 v48, v49, v48
	v_mul_f32_e32 v49, 0x3f62ad3f, v28
	v_add_f32_e32 v5, v5, v82
	v_add_f32_e32 v4, v6, v4
	v_fma_f32 v6, v30, s11, -v104
	v_sub_f32_e32 v40, v49, v40
	v_mul_f32_e32 v49, 0x3f116cb1, v29
	v_add_f32_e32 v5, v7, v5
	v_add_f32_e32 v6, v6, v1
	v_fma_f32 v7, v32, s6, -v105
	v_sub_f32_e32 v41, v49, v41
	v_add_f32_e32 v40, v40, v0
	v_add_f32_e32 v6, v7, v6
	v_fma_f32 v7, v34, s10, -v106
	v_add_f32_e32 v42, v48, v42
	v_mul_f32_e32 v48, 0xbeb58ec6, v36
	v_add_f32_e32 v40, v41, v40
	v_mul_f32_e32 v41, 0x3df6dbef, v31
	v_add_f32_e32 v6, v7, v6
	v_fma_f32 v7, v36, s7, -v107
	v_add_f32_e32 v20, v20, v1
	v_add_f32_e32 v22, v22, v1
	v_add_f32_e32 v48, v52, v48
	v_sub_f32_e32 v41, v41, v43
	v_add_f32_e32 v4, v8, v4
	v_add_f32_e32 v6, v7, v6
	v_fma_f32 v7, v38, s9, -v108
	v_fma_f32 v8, v30, s7, -v72
	v_add_f32_e32 v20, v21, v20
	v_fma_f32 v21, v28, s10, -v97
	v_add_f32_e32 v22, v23, v22
	;; [unrolled: 2-line block ×3, first 2 shown]
	v_mul_f32_e32 v48, 0xbf3f9e67, v38
	v_add_f32_e32 v40, v41, v40
	v_mul_f32_e32 v41, 0xbeb58ec6, v33
	v_add_f32_e32 v6, v7, v6
	v_fma_f32 v7, v39, s8, -v115
	v_fmac_f32_e32 v109, 0xbf788fa5, v28
	v_add_f32_e32 v1, v8, v1
	v_fma_f32 v8, v32, s9, -v58
	v_fmac_f32_e32 v51, 0x3f116cb1, v28
	v_add_f32_e32 v20, v94, v20
	v_add_f32_e32 v21, v21, v0
	v_fma_f32 v94, v29, s8, -v98
	v_add_f32_e32 v22, v84, v22
	v_add_f32_e32 v23, v23, v0
	v_fma_f32 v84, v29, s10, -v88
	v_add_f32_e32 v48, v55, v48
	v_sub_f32_e32 v41, v41, v47
	v_add_f32_e32 v5, v9, v5
	v_add_f32_e32 v7, v7, v6
	v_add_f32_e32 v6, v109, v0
	v_fmac_f32_e32 v110, 0x3f62ad3f, v29
	v_add_f32_e32 v1, v8, v1
	v_fma_f32 v8, v34, s11, -v61
	v_add_f32_e32 v0, v51, v0
	v_fmac_f32_e32 v54, 0xbeb58ec6, v29
	v_fma_f32 v114, v35, s9, -v113
	v_add_f32_e32 v21, v94, v21
	v_fma_f32 v94, v31, s7, -v99
	v_add_f32_e32 v23, v84, v23
	;; [unrolled: 2-line block ×3, first 2 shown]
	v_mul_f32_e32 v48, 0xbf788fa5, v39
	v_add_f32_e32 v40, v41, v40
	v_mul_f32_e32 v41, 0xbf3f9e67, v35
	v_add_f32_e32 v5, v11, v5
	v_add_f32_e32 v4, v10, v4
	;; [unrolled: 1-line block ×3, first 2 shown]
	v_fmac_f32_e32 v111, 0xbf3f9e67, v31
	v_add_f32_e32 v1, v8, v1
	v_fma_f32 v8, v36, s10, -v63
	v_add_f32_e32 v0, v54, v0
	v_fmac_f32_e32 v74, 0xbf788fa5, v31
	v_add_f32_e32 v114, v114, v19
	v_mov_b32_e32 v19, v115
	v_add_f32_e32 v20, v95, v20
	v_add_f32_e32 v21, v94, v21
	v_fma_f32 v94, v33, s11, -v100
	v_add_f32_e32 v22, v85, v22
	v_add_f32_e32 v23, v84, v23
	v_fma_f32 v84, v33, s8, -v90
	v_add_f32_e32 v48, v60, v48
	v_sub_f32_e32 v41, v41, v50
	v_mul_f32_e32 v43, 0xbf788fa5, v37
	v_add_f32_e32 v5, v13, v5
	v_add_f32_e32 v4, v12, v4
	v_add_f32_e32 v6, v111, v6
	v_fmac_f32_e32 v112, 0x3f116cb1, v33
	v_add_f32_e32 v1, v8, v1
	v_fma_f32 v8, v38, s8, -v65
	v_add_f32_e32 v0, v74, v0
	v_fmac_f32_e32 v59, 0xbf3f9e67, v33
	v_fmac_f32_e32 v19, 0x3df6dbef, v39
	v_add_f32_e32 v20, v96, v20
	v_add_f32_e32 v21, v94, v21
	v_fma_f32 v94, v35, s6, -v101
	v_add_f32_e32 v22, v86, v22
	v_add_f32_e32 v23, v84, v23
	v_fma_f32 v84, v35, s11, -v91
	v_add_f32_e32 v40, v41, v40
	v_add_f32_e32 v41, v48, v42
	v_sub_f32_e32 v42, v43, v53
	v_add_f32_e32 v5, v15, v5
	v_add_f32_e32 v4, v14, v4
	;; [unrolled: 1-line block ×3, first 2 shown]
	v_fmac_f32_e32 v113, 0xbeb58ec6, v35
	v_add_f32_e32 v1, v8, v1
	v_fma_f32 v8, v39, s6, -v66
	v_add_f32_e32 v0, v59, v0
	v_fmac_f32_e32 v62, 0x3df6dbef, v35
	v_add_f32_e32 v19, v19, v18
	v_fma_f32 v18, v37, s8, -v116
	v_add_f32_e32 v94, v94, v21
	v_add_f32_e32 v21, v102, v20
	v_fma_f32 v20, v37, s9, -v103
	v_add_f32_e32 v84, v84, v23
	;; [unrolled: 3-line block ×3, first 2 shown]
	v_add_f32_e32 v5, v25, v5
	v_add_f32_e32 v4, v24, v4
	v_add_f32_e32 v6, v113, v6
	v_fmac_f32_e32 v116, 0x3df6dbef, v37
	v_add_f32_e32 v1, v8, v1
	v_add_f32_e32 v0, v62, v0
	v_fmac_f32_e32 v64, 0x3f62ad3f, v37
	v_lshlrev_b32_e32 v8, 3, v69
	v_add_f32_e32 v18, v18, v114
	v_add_f32_e32 v20, v20, v94
	v_add_f32_e32 v22, v22, v84
	v_add_f32_e32 v6, v116, v6
	v_add_f32_e32 v0, v64, v0
	ds_write2_b64 v8, v[4:5], v[40:41] offset1:1
	ds_write2_b64 v8, v[56:57], v[70:71] offset0:2 offset1:3
	ds_write2_b64 v8, v[22:23], v[20:21] offset0:4 offset1:5
	;; [unrolled: 1-line block ×5, first 2 shown]
	ds_write_b64 v8, v[45:46] offset:96
.LBB0_7:
	s_or_b64 exec, exec, s[4:5]
	s_movk_i32 s8, 0x4f
	v_mul_lo_u16_sdwa v0, v67, s8 dst_sel:DWORD dst_unused:UNUSED_PAD src0_sel:BYTE_0 src1_sel:DWORD
	v_lshrrev_b16_e32 v36, 10, v0
	v_mul_lo_u16_e32 v0, 13, v36
	v_sub_u16_e32 v0, v67, v0
	v_and_b32_e32 v37, 0xff, v0
	v_add_u16_e32 v0, 52, v67
	v_mul_lo_u16_sdwa v1, v0, s8 dst_sel:DWORD dst_unused:UNUSED_PAD src0_sel:BYTE_0 src1_sel:DWORD
	v_lshrrev_b16_e32 v38, 10, v1
	v_mul_lo_u16_e32 v1, 13, v38
	s_load_dwordx4 s[4:7], s[2:3], 0x0
	v_mad_u64_u32 v[4:5], s[2:3], v37, 24, s[0:1]
	v_sub_u16_e32 v0, v0, v1
	v_and_b32_e32 v39, 0xff, v0
	v_mad_u64_u32 v[12:13], s[2:3], v39, 24, s[0:1]
	s_waitcnt lgkmcnt(0)
	; wave barrier
	s_waitcnt lgkmcnt(0)
	global_load_dwordx2 v[47:48], v[4:5], off offset:16
	global_load_dwordx4 v[8:11], v[4:5], off
	global_load_dwordx4 v[0:3], v[12:13], off
	v_add_u16_e32 v4, 0x68, v67
	v_mul_lo_u16_sdwa v5, v4, s8 dst_sel:DWORD dst_unused:UNUSED_PAD src0_sel:BYTE_0 src1_sel:DWORD
	v_lshrrev_b16_e32 v40, 10, v5
	v_mul_lo_u16_e32 v5, 13, v40
	v_sub_u16_e32 v4, v4, v5
	v_and_b32_e32 v41, 0xff, v4
	v_mad_u64_u32 v[14:15], s[2:3], v41, 24, s[0:1]
	global_load_dwordx2 v[51:52], v[12:13], off offset:16
	global_load_dwordx4 v[4:7], v[14:15], off
	global_load_dwordx2 v[49:50], v[14:15], off offset:16
	v_mov_b32_e32 v12, 3
	v_lshlrev_b32_sdwa v70, v12, v67 dst_sel:DWORD dst_unused:UNUSED_PAD src0_sel:DWORD src1_sel:WORD_0
	ds_read2_b64 v[12:15], v70 offset1:52
	ds_read2_b64 v[16:19], v70 offset0:104 offset1:156
	v_add_u32_e32 v76, 0x800, v70
	v_add_u32_e32 v75, 0x400, v70
	;; [unrolled: 1-line block ×3, first 2 shown]
	ds_read2_b64 v[20:23], v76 offset0:56 offset1:108
	ds_read2_b64 v[24:27], v76 offset0:160 offset1:212
	;; [unrolled: 1-line block ×4, first 2 shown]
	v_mul_u32_u24_e32 v36, 52, v36
	s_waitcnt lgkmcnt(0)
	; wave barrier
	s_waitcnt lgkmcnt(0)
	s_movk_i32 s10, 0x1000
	s_waitcnt vmcnt(5)
	v_mul_f32_e32 v55, v27, v48
	s_waitcnt vmcnt(4)
	v_mul_f32_e32 v42, v19, v9
	v_mul_f32_e32 v43, v18, v9
	;; [unrolled: 1-line block ×5, first 2 shown]
	s_waitcnt vmcnt(3)
	v_mul_f32_e32 v59, v23, v3
	v_fma_f32 v18, v18, v8, -v42
	v_fmac_f32_e32 v43, v19, v8
	v_fma_f32 v19, v20, v10, -v53
	v_fmac_f32_e32 v54, v21, v10
	;; [unrolled: 2-line block ×3, first 2 shown]
	v_mul_f32_e32 v57, v29, v1
	v_mul_f32_e32 v58, v28, v1
	;; [unrolled: 1-line block ×3, first 2 shown]
	s_waitcnt vmcnt(2)
	v_mul_f32_e32 v61, v33, v52
	v_mul_f32_e32 v62, v32, v52
	s_waitcnt vmcnt(1)
	v_mul_f32_e32 v64, v30, v5
	v_mul_f32_e32 v65, v25, v7
	;; [unrolled: 1-line block ×3, first 2 shown]
	v_fma_f32 v27, v22, v2, -v59
	v_sub_f32_e32 v21, v12, v19
	v_sub_f32_e32 v22, v13, v54
	;; [unrolled: 1-line block ×4, first 2 shown]
	v_mul_f32_e32 v63, v31, v5
	s_waitcnt vmcnt(0)
	v_mul_f32_e32 v72, v35, v50
	v_mul_f32_e32 v73, v34, v50
	v_fma_f32 v26, v28, v0, -v57
	v_fmac_f32_e32 v58, v29, v0
	v_fmac_f32_e32 v60, v23, v2
	v_fma_f32 v28, v32, v51, -v61
	v_fmac_f32_e32 v62, v33, v51
	v_fmac_f32_e32 v64, v31, v4
	v_fma_f32 v31, v24, v6, -v65
	v_fmac_f32_e32 v66, v25, v6
	v_fma_f32 v23, v12, 2.0, -v21
	v_fma_f32 v24, v13, 2.0, -v22
	;; [unrolled: 1-line block ×4, first 2 shown]
	v_fma_f32 v30, v30, v4, -v63
	v_fma_f32 v32, v34, v49, -v72
	v_fmac_f32_e32 v73, v35, v49
	v_sub_f32_e32 v12, v21, v20
	v_add_f32_e32 v13, v22, v19
	v_sub_f32_e32 v18, v23, v18
	v_sub_f32_e32 v19, v24, v25
	;; [unrolled: 1-line block ×6, first 2 shown]
	v_fma_f32 v20, v21, 2.0, -v12
	v_fma_f32 v21, v22, 2.0, -v13
	;; [unrolled: 1-line block ×6, first 2 shown]
	v_sub_f32_e32 v26, v29, v28
	v_add_f32_e32 v27, v33, v27
	v_sub_f32_e32 v34, v16, v31
	v_sub_f32_e32 v35, v17, v66
	;; [unrolled: 1-line block ×4, first 2 shown]
	v_fma_f32 v25, v15, 2.0, -v33
	v_fma_f32 v15, v58, 2.0, -v28
	;; [unrolled: 1-line block ×8, first 2 shown]
	v_add_lshl_u32 v72, v36, v37, 3
	v_mad_u64_u32 v[55:56], s[0:1], v67, 40, s[0:1]
	v_sub_f32_e32 v16, v31, v16
	v_sub_f32_e32 v17, v33, v17
	ds_write2_b64 v72, v[22:23], v[20:21] offset1:13
	ds_write2_b64 v72, v[18:19], v[12:13] offset0:26 offset1:39
	v_mul_u32_u24_e32 v12, 52, v38
	v_sub_f32_e32 v14, v24, v14
	v_sub_f32_e32 v15, v25, v15
	v_fma_f32 v30, v31, 2.0, -v16
	v_fma_f32 v31, v33, 2.0, -v17
	v_sub_f32_e32 v32, v34, v32
	v_add_f32_e32 v33, v35, v42
	v_add_lshl_u32 v73, v12, v39, 3
	v_mul_u32_u24_e32 v12, 52, v40
	v_fma_f32 v24, v24, 2.0, -v14
	v_fma_f32 v25, v25, 2.0, -v15
	;; [unrolled: 1-line block ×4, first 2 shown]
	v_add_lshl_u32 v74, v12, v41, 3
	ds_write2_b64 v73, v[24:25], v[28:29] offset1:13
	ds_write2_b64 v73, v[14:15], v[26:27] offset0:26 offset1:39
	ds_write2_b64 v74, v[30:31], v[34:35] offset1:13
	ds_write2_b64 v74, v[16:17], v[32:33] offset0:26 offset1:39
	s_waitcnt lgkmcnt(0)
	; wave barrier
	s_waitcnt lgkmcnt(0)
	global_load_dwordx4 v[16:19], v[55:56], off offset:312
	global_load_dwordx4 v[12:15], v[55:56], off offset:328
	global_load_dwordx2 v[53:54], v[55:56], off offset:344
	ds_read2_b64 v[20:23], v70 offset1:52
	ds_read2_b64 v[24:27], v70 offset0:104 offset1:156
	ds_read2_b64 v[28:31], v75 offset0:80 offset1:132
	;; [unrolled: 1-line block ×5, first 2 shown]
	s_waitcnt lgkmcnt(0)
	; wave barrier
	s_waitcnt vmcnt(2) lgkmcnt(0)
	v_mul_f32_e32 v60, v28, v19
	v_mul_f32_e32 v77, v27, v17
	s_waitcnt vmcnt(0)
	v_mul_f32_e32 v65, v41, v54
	v_mul_f32_e32 v57, v25, v17
	;; [unrolled: 1-line block ×6, first 2 shown]
	v_fmac_f32_e32 v60, v29, v18
	v_fma_f32 v29, v40, v53, -v65
	v_fma_f32 v40, v26, v16, -v77
	v_mul_f32_e32 v26, v31, v19
	v_mul_f32_e32 v58, v24, v17
	;; [unrolled: 1-line block ×3, first 2 shown]
	v_fma_f32 v57, v24, v16, -v57
	v_fma_f32 v24, v28, v18, -v59
	;; [unrolled: 1-line block ×4, first 2 shown]
	v_mul_f32_e32 v26, v35, v13
	v_fmac_f32_e32 v66, v41, v53
	v_fma_f32 v41, v34, v12, -v26
	v_mul_f32_e32 v34, v34, v13
	v_mul_f32_e32 v26, v39, v15
	v_fmac_f32_e32 v34, v35, v12
	v_fma_f32 v35, v38, v14, -v26
	v_mul_f32_e32 v38, v38, v15
	v_mul_f32_e32 v26, v43, v54
	v_fmac_f32_e32 v38, v39, v14
	v_fma_f32 v39, v42, v53, -v26
	v_add_f32_e32 v26, v20, v24
	v_fmac_f32_e32 v64, v37, v14
	v_mul_f32_e32 v37, v30, v19
	v_add_f32_e32 v30, v26, v28
	v_add_f32_e32 v26, v24, v28
	v_mul_f32_e32 v61, v33, v13
	v_fmac_f32_e32 v37, v31, v18
	v_fma_f32 v31, -0.5, v26, v20
	v_mul_f32_e32 v62, v32, v13
	v_fmac_f32_e32 v58, v25, v16
	v_fma_f32 v25, v32, v12, -v61
	v_sub_f32_e32 v20, v60, v64
	v_mov_b32_e32 v32, v31
	v_fmac_f32_e32 v32, 0x3f5db3d7, v20
	v_fmac_f32_e32 v31, 0xbf5db3d7, v20
	v_add_f32_e32 v20, v21, v60
	v_fmac_f32_e32 v62, v33, v12
	v_mul_f32_e32 v42, v42, v54
	v_add_f32_e32 v33, v20, v64
	v_add_f32_e32 v20, v60, v64
	v_fmac_f32_e32 v42, v43, v53
	v_fma_f32 v43, -0.5, v20, v21
	v_sub_f32_e32 v20, v24, v28
	v_mov_b32_e32 v59, v43
	v_fmac_f32_e32 v59, 0xbf5db3d7, v20
	v_fmac_f32_e32 v43, 0x3f5db3d7, v20
	v_add_f32_e32 v20, v57, v25
	v_add_f32_e32 v28, v20, v29
	;; [unrolled: 1-line block ×3, first 2 shown]
	v_fmac_f32_e32 v57, -0.5, v20
	v_fmac_f32_e32 v78, v27, v16
	v_sub_f32_e32 v20, v62, v66
	v_mov_b32_e32 v27, v57
	v_fmac_f32_e32 v27, 0x3f5db3d7, v20
	v_fmac_f32_e32 v57, 0xbf5db3d7, v20
	v_add_f32_e32 v20, v58, v62
	v_add_f32_e32 v60, v20, v66
	v_add_f32_e32 v20, v62, v66
	v_fmac_f32_e32 v58, -0.5, v20
	v_sub_f32_e32 v20, v25, v29
	v_mov_b32_e32 v25, v58
	v_fmac_f32_e32 v25, 0xbf5db3d7, v20
	v_fmac_f32_e32 v58, 0x3f5db3d7, v20
	v_mul_f32_e32 v61, -0.5, v57
	v_mul_f32_e32 v29, 0x3f5db3d7, v25
	v_fmac_f32_e32 v61, 0x3f5db3d7, v58
	v_mul_f32_e32 v58, -0.5, v58
	v_fmac_f32_e32 v29, 0.5, v27
	v_fmac_f32_e32 v58, 0xbf5db3d7, v57
	v_add_f32_e32 v57, v36, v35
	v_add_f32_e32 v20, v30, v28
	;; [unrolled: 1-line block ×4, first 2 shown]
	v_mul_f32_e32 v62, 0xbf5db3d7, v27
	v_add_f32_e32 v27, v43, v58
	v_sub_f32_e32 v28, v30, v28
	v_sub_f32_e32 v30, v32, v29
	;; [unrolled: 1-line block ×4, first 2 shown]
	v_add_f32_e32 v43, v22, v36
	v_fma_f32 v22, -0.5, v57, v22
	v_sub_f32_e32 v57, v37, v38
	v_mov_b32_e32 v58, v22
	v_fmac_f32_e32 v58, 0x3f5db3d7, v57
	v_fmac_f32_e32 v22, 0xbf5db3d7, v57
	v_add_f32_e32 v57, v23, v37
	v_add_f32_e32 v37, v37, v38
	v_fmac_f32_e32 v62, 0.5, v25
	v_fmac_f32_e32 v23, -0.5, v37
	v_add_f32_e32 v26, v31, v61
	v_add_f32_e32 v25, v59, v62
	v_sub_f32_e32 v32, v31, v61
	v_sub_f32_e32 v31, v59, v62
	v_add_f32_e32 v43, v43, v35
	v_sub_f32_e32 v35, v36, v35
	v_mov_b32_e32 v59, v23
	v_fmac_f32_e32 v59, 0xbf5db3d7, v35
	v_fmac_f32_e32 v23, 0x3f5db3d7, v35
	v_add_f32_e32 v35, v40, v41
	v_add_f32_e32 v60, v35, v39
	;; [unrolled: 1-line block ×3, first 2 shown]
	v_fmac_f32_e32 v40, -0.5, v35
	v_sub_f32_e32 v35, v34, v42
	v_mov_b32_e32 v37, v40
	v_fmac_f32_e32 v37, 0x3f5db3d7, v35
	v_fmac_f32_e32 v40, 0xbf5db3d7, v35
	v_add_f32_e32 v35, v78, v34
	v_add_f32_e32 v34, v34, v42
	v_fmac_f32_e32 v78, -0.5, v34
	v_sub_f32_e32 v34, v41, v39
	v_mov_b32_e32 v39, v78
	v_fmac_f32_e32 v39, 0xbf5db3d7, v34
	v_fmac_f32_e32 v78, 0x3f5db3d7, v34
	v_mul_f32_e32 v41, 0x3f5db3d7, v39
	v_mul_f32_e32 v62, -0.5, v40
	v_mul_f32_e32 v63, 0xbf5db3d7, v37
	v_mul_f32_e32 v64, -0.5, v78
	v_add_f32_e32 v57, v57, v38
	v_add_f32_e32 v61, v35, v42
	v_fmac_f32_e32 v41, 0.5, v37
	v_fmac_f32_e32 v62, 0x3f5db3d7, v78
	v_fmac_f32_e32 v63, 0.5, v39
	v_fmac_f32_e32 v64, 0xbf5db3d7, v40
	v_add_f32_e32 v34, v43, v60
	v_add_f32_e32 v36, v58, v41
	v_add_f32_e32 v38, v22, v62
	v_add_f32_e32 v35, v57, v61
	v_add_f32_e32 v37, v59, v63
	v_add_f32_e32 v39, v23, v64
	v_sub_f32_e32 v40, v43, v60
	v_sub_f32_e32 v42, v58, v41
	;; [unrolled: 1-line block ×6, first 2 shown]
	ds_write2_b64 v70, v[20:21], v[24:25] offset1:52
	ds_write2_b64 v70, v[26:27], v[28:29] offset0:104 offset1:156
	ds_write2_b64 v75, v[30:31], v[32:33] offset0:80 offset1:132
	;; [unrolled: 1-line block ×5, first 2 shown]
	v_lshlrev_b32_e32 v20, 5, v67
	v_sub_co_u32_e64 v20, s[0:1], v55, v20
	v_subbrev_co_u32_e64 v21, s[0:1], 0, v56, s[0:1]
	s_waitcnt lgkmcnt(0)
	; wave barrier
	s_waitcnt lgkmcnt(0)
	global_load_dwordx2 v[55:56], v[20:21], off offset:2392
	global_load_dwordx2 v[57:58], v[20:21], off offset:2808
	;; [unrolled: 1-line block ×5, first 2 shown]
	v_add_co_u32_e64 v20, s[0:1], s10, v20
	v_addc_co_u32_e64 v21, s[0:1], 0, v21, s[0:1]
	global_load_dwordx2 v[65:66], v[20:21], off offset:376
	ds_read2_b64 v[26:29], v70 offset1:52
	ds_read2_b64 v[20:23], v76 offset0:56 offset1:108
	ds_read2_b64 v[34:37], v70 offset0:104 offset1:156
	;; [unrolled: 1-line block ×5, first 2 shown]
	s_waitcnt vmcnt(5) lgkmcnt(4)
	v_mul_f32_e32 v24, v21, v56
	v_fma_f32 v24, v20, v55, -v24
	v_mul_f32_e32 v20, v20, v56
	v_fmac_f32_e32 v20, v21, v55
	s_waitcnt vmcnt(4)
	v_mul_f32_e32 v21, v23, v58
	v_fma_f32 v25, v22, v57, -v21
	s_waitcnt vmcnt(3) lgkmcnt(2)
	v_mul_f32_e32 v21, v31, v60
	v_fma_f32 v43, v30, v59, -v21
	s_waitcnt vmcnt(2)
	v_mul_f32_e32 v21, v33, v62
	v_fma_f32 v82, v32, v61, -v21
	s_waitcnt vmcnt(1) lgkmcnt(0)
	v_mul_f32_e32 v21, v39, v64
	v_mul_f32_e32 v42, v22, v58
	;; [unrolled: 1-line block ×3, first 2 shown]
	v_fma_f32 v83, v38, v63, -v21
	s_waitcnt vmcnt(0)
	v_mul_f32_e32 v21, v41, v66
	v_fmac_f32_e32 v42, v23, v57
	v_fmac_f32_e32 v81, v31, v59
	v_mul_f32_e32 v32, v32, v62
	v_mul_f32_e32 v84, v38, v64
	v_fma_f32 v85, v40, v65, -v21
	v_mul_f32_e32 v40, v40, v66
	v_sub_f32_e32 v22, v26, v24
	v_sub_f32_e32 v23, v27, v20
	v_fmac_f32_e32 v32, v33, v61
	v_fmac_f32_e32 v84, v39, v63
	v_fmac_f32_e32 v40, v41, v65
	v_fma_f32 v20, v26, 2.0, -v22
	v_fma_f32 v21, v27, 2.0, -v23
	v_sub_f32_e32 v26, v28, v25
	v_sub_f32_e32 v27, v29, v42
	;; [unrolled: 1-line block ×4, first 2 shown]
	v_fma_f32 v24, v28, 2.0, -v26
	v_fma_f32 v25, v29, 2.0, -v27
	;; [unrolled: 1-line block ×4, first 2 shown]
	v_sub_f32_e32 v34, v36, v82
	v_sub_f32_e32 v35, v37, v32
	;; [unrolled: 1-line block ×6, first 2 shown]
	v_fma_f32 v32, v36, 2.0, -v34
	v_fma_f32 v33, v37, 2.0, -v35
	;; [unrolled: 1-line block ×6, first 2 shown]
	ds_write2_b64 v70, v[20:21], v[24:25] offset1:52
	ds_write2_b64 v76, v[22:23], v[26:27] offset0:56 offset1:108
	ds_write2_b64 v70, v[28:29], v[32:33] offset0:104 offset1:156
	;; [unrolled: 1-line block ×5, first 2 shown]
	v_lshlrev_b32_e32 v71, 3, v67
	s_waitcnt lgkmcnt(0)
	; wave barrier
	s_waitcnt lgkmcnt(0)
	s_and_saveexec_b64 s[2:3], vcc
	s_cbranch_execz .LBB0_9
; %bb.8:
	s_add_u32 s8, s12, 0x1380
	s_addc_u32 s9, s13, 0
	v_add_co_u32_e64 v83, s[0:1], s8, v68
	v_mov_b32_e32 v77, s9
	v_addc_co_u32_e64 v84, s[0:1], 0, v77, s[0:1]
	global_load_dwordx2 v[77:78], v68, s[8:9]
	ds_read_b64 v[75:76], v70
	v_add_u32_e32 v85, 0x400, v71
	s_waitcnt vmcnt(0) lgkmcnt(0)
	v_mul_f32_e32 v79, v76, v78
	v_mul_f32_e32 v80, v75, v78
	v_fma_f32 v79, v75, v77, -v79
	v_fmac_f32_e32 v80, v76, v77
	ds_write_b64 v70, v[79:80]
	global_load_dwordx2 v[79:80], v68, s[8:9] offset:384
	ds_read2_b64 v[75:78], v71 offset0:48 offset1:96
	s_waitcnt vmcnt(0) lgkmcnt(0)
	v_mul_f32_e32 v81, v76, v80
	v_mul_f32_e32 v82, v75, v80
	v_fma_f32 v81, v75, v79, -v81
	v_fmac_f32_e32 v82, v76, v79
	global_load_dwordx2 v[75:76], v68, s[8:9] offset:768
	s_waitcnt vmcnt(0)
	v_mul_f32_e32 v79, v78, v76
	v_mul_f32_e32 v80, v77, v76
	v_fma_f32 v79, v77, v75, -v79
	v_fmac_f32_e32 v80, v78, v75
	ds_write2_b64 v71, v[81:82], v[79:80] offset0:48 offset1:96
	global_load_dwordx2 v[79:80], v68, s[8:9] offset:1152
	ds_read2_b64 v[75:78], v71 offset0:144 offset1:192
	s_waitcnt vmcnt(0) lgkmcnt(0)
	v_mul_f32_e32 v81, v76, v80
	v_mul_f32_e32 v82, v75, v80
	v_fma_f32 v81, v75, v79, -v81
	v_fmac_f32_e32 v82, v76, v79
	global_load_dwordx2 v[75:76], v68, s[8:9] offset:1536
	s_waitcnt vmcnt(0)
	v_mul_f32_e32 v79, v78, v76
	v_mul_f32_e32 v80, v77, v76
	v_fma_f32 v79, v77, v75, -v79
	v_fmac_f32_e32 v80, v78, v75
	ds_write2_b64 v71, v[81:82], v[79:80] offset0:144 offset1:192
	;; [unrolled: 14-line block ×3, first 2 shown]
	global_load_dwordx2 v[79:80], v68, s[8:9] offset:2688
	v_add_u32_e32 v85, 0x800, v71
	ds_read2_b64 v[75:78], v85 offset0:80 offset1:128
	s_waitcnt vmcnt(0) lgkmcnt(0)
	v_mul_f32_e32 v81, v76, v80
	v_mul_f32_e32 v82, v75, v80
	v_fma_f32 v81, v75, v79, -v81
	v_fmac_f32_e32 v82, v76, v79
	global_load_dwordx2 v[75:76], v68, s[8:9] offset:3072
	s_waitcnt vmcnt(0)
	v_mul_f32_e32 v79, v78, v76
	v_mul_f32_e32 v80, v77, v76
	v_fma_f32 v79, v77, v75, -v79
	v_fmac_f32_e32 v80, v78, v75
	ds_write2_b64 v85, v[81:82], v[79:80] offset0:80 offset1:128
	global_load_dwordx2 v[79:80], v68, s[8:9] offset:3456
	ds_read2_b64 v[75:78], v85 offset0:176 offset1:224
	s_waitcnt vmcnt(0) lgkmcnt(0)
	v_mul_f32_e32 v81, v76, v80
	v_mul_f32_e32 v82, v75, v80
	v_fma_f32 v81, v75, v79, -v81
	v_fmac_f32_e32 v82, v76, v79
	global_load_dwordx2 v[75:76], v68, s[8:9] offset:3840
	s_waitcnt vmcnt(0)
	v_mul_f32_e32 v79, v78, v76
	v_mul_f32_e32 v80, v77, v76
	v_fma_f32 v79, v77, v75, -v79
	v_fmac_f32_e32 v80, v78, v75
	ds_write2_b64 v85, v[81:82], v[79:80] offset0:176 offset1:224
	v_add_co_u32_e64 v79, s[0:1], s10, v83
	v_addc_co_u32_e64 v80, s[0:1], 0, v84, s[0:1]
	global_load_dwordx2 v[79:80], v[79:80], off offset:128
	v_add_u32_e32 v85, 0x1000, v71
	ds_read2_b64 v[75:78], v85 offset0:16 offset1:64
	s_waitcnt vmcnt(0) lgkmcnt(0)
	v_mul_f32_e32 v81, v76, v80
	v_fma_f32 v81, v75, v79, -v81
	v_mul_f32_e32 v82, v75, v80
	v_or_b32_e32 v75, 0x1200, v68
	v_fmac_f32_e32 v82, v76, v79
	global_load_dwordx2 v[75:76], v75, s[8:9]
	s_waitcnt vmcnt(0)
	v_mul_f32_e32 v79, v78, v76
	v_mul_f32_e32 v80, v77, v76
	v_fma_f32 v79, v77, v75, -v79
	v_fmac_f32_e32 v80, v78, v75
	ds_write2_b64 v85, v[81:82], v[79:80] offset0:16 offset1:64
.LBB0_9:
	s_or_b64 exec, exec, s[2:3]
	s_waitcnt lgkmcnt(0)
	; wave barrier
	s_waitcnt lgkmcnt(0)
	s_and_saveexec_b64 s[0:1], vcc
	s_cbranch_execz .LBB0_11
; %bb.10:
	ds_read2_b64 v[20:23], v70 offset1:48
	ds_read2_b64 v[24:27], v70 offset0:96 offset1:144
	ds_read2_b64 v[28:31], v70 offset0:192 offset1:240
	v_add_u32_e32 v36, 0x800, v70
	v_add_u32_e32 v40, 0xc00, v70
	ds_read2_b64 v[32:35], v36 offset0:32 offset1:80
	ds_read2_b64 v[36:39], v36 offset0:128 offset1:176
	;; [unrolled: 1-line block ×3, first 2 shown]
	ds_read_b64 v[45:46], v70 offset:4608
.LBB0_11:
	s_or_b64 exec, exec, s[0:1]
	s_waitcnt lgkmcnt(0)
	; wave barrier
	s_waitcnt lgkmcnt(0)
	s_and_saveexec_b64 s[0:1], vcc
	s_cbranch_execz .LBB0_13
; %bb.12:
	v_sub_f32_e32 v93, v22, v45
	v_mul_f32_e32 v87, 0xbf7e222b, v93
	v_sub_f32_e32 v94, v24, v42
	v_add_f32_e32 v91, v46, v23
	v_mov_b32_e32 v75, v87
	v_mul_f32_e32 v88, 0xbe750f2a, v94
	v_fmac_f32_e32 v75, 0x3df6dbef, v91
	v_add_f32_e32 v92, v43, v25
	v_mov_b32_e32 v76, v88
	v_sub_f32_e32 v95, v26, v40
	v_add_f32_e32 v75, v21, v75
	v_fmac_f32_e32 v76, 0xbf788fa5, v92
	v_mul_f32_e32 v89, 0x3f6f5d39, v95
	v_add_f32_e32 v75, v76, v75
	v_add_f32_e32 v96, v41, v27
	v_mov_b32_e32 v76, v89
	v_sub_f32_e32 v97, v28, v38
	v_fmac_f32_e32 v76, 0xbeb58ec6, v96
	v_mul_f32_e32 v90, 0x3eedf032, v97
	v_add_f32_e32 v75, v76, v75
	v_add_f32_e32 v98, v39, v29
	v_mov_b32_e32 v76, v90
	v_sub_f32_e32 v99, v30, v36
	;; [unrolled: 6-line block ×4, first 2 shown]
	s_mov_b32 s2, 0x3df6dbef
	v_fmac_f32_e32 v76, 0xbf3f9e67, v104
	v_add_f32_e32 v105, v45, v22
	v_mul_f32_e32 v107, 0xbf7e222b, v106
	v_sub_f32_e32 v109, v25, v43
	s_mov_b32 s3, 0xbf788fa5
	v_add_f32_e32 v76, v76, v75
	v_fma_f32 v75, v105, s2, -v107
	v_add_f32_e32 v108, v42, v24
	v_mul_f32_e32 v110, 0xbe750f2a, v109
	v_sub_f32_e32 v112, v27, v41
	s_mov_b32 s8, 0xbeb58ec6
	v_add_f32_e32 v75, v20, v75
	v_fma_f32 v77, v108, s3, -v110
	;; [unrolled: 6-line block ×5, first 2 shown]
	v_add_f32_e32 v120, v34, v32
	v_mul_f32_e32 v122, 0xbf29c268, v121
	v_add_f32_e32 v75, v77, v75
	v_fma_f32 v77, v120, s11, -v122
	v_mul_f32_e32 v85, 0xbf6f5d39, v93
	v_add_f32_e32 v75, v77, v75
	v_mov_b32_e32 v77, v85
	v_mul_f32_e32 v86, 0x3f29c268, v94
	v_fmac_f32_e32 v77, 0xbeb58ec6, v91
	v_mov_b32_e32 v78, v86
	v_add_f32_e32 v77, v21, v77
	v_fmac_f32_e32 v78, 0xbf3f9e67, v92
	v_mul_f32_e32 v123, 0x3eedf032, v95
	v_add_f32_e32 v77, v78, v77
	v_mov_b32_e32 v78, v123
	v_fmac_f32_e32 v78, 0x3f62ad3f, v96
	v_mul_f32_e32 v124, 0xbf7e222b, v97
	v_add_f32_e32 v77, v78, v77
	v_mov_b32_e32 v78, v124
	;; [unrolled: 4-line block ×4, first 2 shown]
	v_fmac_f32_e32 v78, 0x3f116cb1, v104
	v_mul_f32_e32 v127, 0xbf6f5d39, v106
	v_add_f32_e32 v78, v78, v77
	v_fma_f32 v77, v105, s8, -v127
	v_mul_f32_e32 v128, 0x3f29c268, v109
	v_add_f32_e32 v77, v20, v77
	v_fma_f32 v79, v108, s11, -v128
	;; [unrolled: 3-line block ×6, first 2 shown]
	v_mul_f32_e32 v83, 0xbf29c268, v93
	v_add_f32_e32 v77, v79, v77
	v_mov_b32_e32 v79, v83
	v_mul_f32_e32 v84, 0x3f7e222b, v94
	v_fmac_f32_e32 v79, 0xbf3f9e67, v91
	v_mov_b32_e32 v80, v84
	v_add_f32_e32 v79, v21, v79
	v_fmac_f32_e32 v80, 0x3df6dbef, v92
	v_mul_f32_e32 v133, 0xbf52af12, v95
	v_add_f32_e32 v79, v80, v79
	v_mov_b32_e32 v80, v133
	v_fmac_f32_e32 v80, 0x3f116cb1, v96
	v_mul_f32_e32 v134, 0x3e750f2a, v97
	v_add_f32_e32 v79, v80, v79
	v_mov_b32_e32 v80, v134
	v_fma_f32 v87, v91, s2, -v87
	v_fmac_f32_e32 v80, 0xbf788fa5, v98
	v_mul_f32_e32 v135, 0x3eedf032, v99
	v_add_f32_e32 v87, v21, v87
	v_fma_f32 v88, v92, s3, -v88
	v_add_f32_e32 v79, v80, v79
	v_mov_b32_e32 v80, v135
	v_add_f32_e32 v87, v88, v87
	v_fma_f32 v88, v96, s8, -v89
	v_fmac_f32_e32 v80, 0x3f62ad3f, v101
	v_mul_f32_e32 v136, 0xbf6f5d39, v102
	v_add_f32_e32 v87, v88, v87
	v_fma_f32 v88, v98, s9, -v90
	v_add_f32_e32 v79, v80, v79
	v_mov_b32_e32 v80, v136
	v_add_f32_e32 v87, v88, v87
	v_fma_f32 v88, v101, s10, -v100
	v_mul_f32_e32 v100, 0x3f116cb1, v91
	v_fmac_f32_e32 v80, 0xbeb58ec6, v104
	v_mul_f32_e32 v137, 0xbf29c268, v106
	v_add_f32_e32 v87, v88, v87
	v_fma_f32 v88, v104, s11, -v103
	v_mov_b32_e32 v89, v100
	v_mul_f32_e32 v103, 0xbeb58ec6, v92
	v_add_f32_e32 v80, v80, v79
	v_fma_f32 v79, v105, s11, -v137
	v_mul_f32_e32 v138, 0x3f7e222b, v109
	v_fmac_f32_e32 v107, 0x3df6dbef, v105
	v_fmac_f32_e32 v89, 0x3f52af12, v93
	v_mov_b32_e32 v90, v103
	v_add_f32_e32 v79, v20, v79
	v_fma_f32 v81, v108, s2, -v138
	v_mul_f32_e32 v139, 0xbf52af12, v112
	v_add_f32_e32 v88, v88, v87
	v_add_f32_e32 v87, v20, v107
	;; [unrolled: 1-line block ×3, first 2 shown]
	v_fmac_f32_e32 v90, 0x3f6f5d39, v94
	v_mul_f32_e32 v107, 0xbf788fa5, v96
	v_add_f32_e32 v79, v81, v79
	v_fma_f32 v81, v111, s10, -v139
	v_mul_f32_e32 v140, 0x3e750f2a, v115
	v_fmac_f32_e32 v110, 0xbf788fa5, v108
	v_add_f32_e32 v89, v90, v89
	v_mov_b32_e32 v90, v107
	v_add_f32_e32 v79, v81, v79
	v_fma_f32 v81, v114, s3, -v140
	v_mul_f32_e32 v141, 0x3eedf032, v118
	v_add_f32_e32 v87, v110, v87
	v_fmac_f32_e32 v90, 0x3e750f2a, v95
	v_mul_f32_e32 v110, 0xbf3f9e67, v98
	v_add_f32_e32 v79, v81, v79
	v_fma_f32 v81, v117, s9, -v141
	v_mul_f32_e32 v142, 0xbf6f5d39, v121
	v_fmac_f32_e32 v113, 0xbeb58ec6, v111
	v_add_f32_e32 v89, v90, v89
	v_mov_b32_e32 v90, v110
	v_add_f32_e32 v79, v81, v79
	v_fma_f32 v81, v120, s8, -v142
	v_mul_f32_e32 v143, 0xbf788fa5, v91
	v_add_f32_e32 v87, v113, v87
	v_fmac_f32_e32 v90, 0xbf29c268, v97
	v_mul_f32_e32 v113, 0x3df6dbef, v101
	v_add_f32_e32 v79, v81, v79
	v_mov_b32_e32 v81, v143
	v_mul_f32_e32 v144, 0x3f62ad3f, v92
	v_fmac_f32_e32 v116, 0x3f62ad3f, v114
	v_add_f32_e32 v89, v90, v89
	v_mov_b32_e32 v90, v113
	v_fmac_f32_e32 v81, 0x3e750f2a, v93
	v_mov_b32_e32 v82, v144
	v_add_f32_e32 v87, v116, v87
	v_fmac_f32_e32 v90, 0xbf7e222b, v99
	v_mul_f32_e32 v116, 0x3f62ad3f, v104
	v_add_f32_e32 v81, v21, v81
	v_fmac_f32_e32 v82, 0xbeedf032, v94
	v_mul_f32_e32 v145, 0xbf3f9e67, v96
	v_fmac_f32_e32 v119, 0x3f116cb1, v117
	v_add_f32_e32 v89, v90, v89
	v_mov_b32_e32 v90, v116
	v_add_f32_e32 v81, v82, v81
	v_mov_b32_e32 v82, v145
	v_fma_f32 v85, v91, s8, -v85
	v_add_f32_e32 v87, v119, v87
	v_fmac_f32_e32 v122, 0xbf3f9e67, v120
	v_fmac_f32_e32 v90, 0xbeedf032, v102
	v_mul_f32_e32 v119, 0xbf52af12, v106
	v_fmac_f32_e32 v82, 0x3f29c268, v95
	v_mul_f32_e32 v146, 0x3f116cb1, v98
	v_add_f32_e32 v85, v21, v85
	v_fma_f32 v86, v92, s11, -v86
	v_add_f32_e32 v87, v122, v87
	v_add_f32_e32 v90, v90, v89
	v_mov_b32_e32 v89, v119
	v_mul_f32_e32 v122, 0xbf6f5d39, v109
	v_add_f32_e32 v81, v82, v81
	v_mov_b32_e32 v82, v146
	v_add_f32_e32 v85, v86, v85
	v_fma_f32 v86, v96, s9, -v123
	v_fmac_f32_e32 v89, 0x3f116cb1, v105
	v_mov_b32_e32 v123, v122
	v_fmac_f32_e32 v82, 0xbf52af12, v97
	v_mul_f32_e32 v147, 0xbeb58ec6, v101
	v_add_f32_e32 v89, v20, v89
	v_fmac_f32_e32 v123, 0xbeb58ec6, v108
	v_add_f32_e32 v81, v82, v81
	v_mov_b32_e32 v82, v147
	v_add_f32_e32 v89, v123, v89
	v_mul_f32_e32 v123, 0xbe750f2a, v112
	v_fmac_f32_e32 v82, 0x3f6f5d39, v99
	v_mul_f32_e32 v148, 0x3df6dbef, v104
	v_add_f32_e32 v85, v86, v85
	v_fma_f32 v86, v98, s2, -v124
	v_mov_b32_e32 v124, v123
	v_add_f32_e32 v81, v82, v81
	v_mov_b32_e32 v82, v148
	v_fmac_f32_e32 v124, 0xbf788fa5, v111
	v_fmac_f32_e32 v82, 0xbf7e222b, v102
	v_mul_f32_e32 v149, 0xbe750f2a, v106
	v_add_f32_e32 v89, v124, v89
	v_mul_f32_e32 v124, 0x3f29c268, v115
	v_add_f32_e32 v82, v82, v81
	v_mov_b32_e32 v81, v149
	v_mul_f32_e32 v150, 0x3eedf032, v109
	v_add_f32_e32 v85, v86, v85
	v_fma_f32 v86, v101, s3, -v125
	v_mov_b32_e32 v125, v124
	v_fmac_f32_e32 v81, 0xbf788fa5, v105
	v_mov_b32_e32 v151, v150
	v_fmac_f32_e32 v125, 0xbf3f9e67, v114
	v_add_f32_e32 v81, v20, v81
	v_fmac_f32_e32 v151, 0x3f62ad3f, v108
	v_add_f32_e32 v89, v125, v89
	v_mul_f32_e32 v125, 0x3f7e222b, v118
	v_add_f32_e32 v22, v22, v20
	v_fmac_f32_e32 v143, 0xbe750f2a, v93
	v_add_f32_e32 v81, v151, v81
	v_mul_f32_e32 v151, 0xbf29c268, v112
	v_add_f32_e32 v85, v86, v85
	v_fma_f32 v86, v104, s10, -v126
	v_mov_b32_e32 v126, v125
	v_add_f32_e32 v22, v24, v22
	v_add_f32_e32 v24, v21, v143
	v_fmac_f32_e32 v144, 0x3eedf032, v94
	v_mov_b32_e32 v152, v151
	v_fmac_f32_e32 v126, 0x3df6dbef, v117
	v_add_f32_e32 v24, v144, v24
	v_fmac_f32_e32 v145, 0xbf29c268, v95
	v_fmac_f32_e32 v152, 0xbf3f9e67, v111
	;; [unrolled: 1-line block ×3, first 2 shown]
	v_add_f32_e32 v89, v126, v89
	v_mul_f32_e32 v126, 0x3eedf032, v121
	v_add_f32_e32 v24, v145, v24
	v_fmac_f32_e32 v146, 0x3f52af12, v97
	v_add_f32_e32 v81, v152, v81
	v_mul_f32_e32 v152, 0x3f52af12, v115
	v_add_f32_e32 v86, v86, v85
	v_add_f32_e32 v85, v20, v127
	v_mov_b32_e32 v127, v126
	v_add_f32_e32 v24, v146, v24
	v_fmac_f32_e32 v147, 0xbf6f5d39, v99
	v_mov_b32_e32 v153, v152
	v_fmac_f32_e32 v127, 0x3f62ad3f, v120
	v_add_f32_e32 v23, v23, v21
	v_add_f32_e32 v24, v147, v24
	v_fmac_f32_e32 v148, 0x3f7e222b, v102
	v_fmac_f32_e32 v153, 0x3f116cb1, v114
	;; [unrolled: 1-line block ×3, first 2 shown]
	v_add_f32_e32 v89, v127, v89
	v_mul_f32_e32 v127, 0x3f62ad3f, v91
	v_add_f32_e32 v23, v25, v23
	v_add_f32_e32 v25, v148, v24
	v_fma_f32 v24, v105, s3, -v149
	v_add_f32_e32 v81, v153, v81
	v_mul_f32_e32 v153, 0xbf6f5d39, v118
	v_fma_f32 v83, v91, s11, -v83
	v_add_f32_e32 v85, v128, v85
	v_mov_b32_e32 v91, v127
	v_mul_f32_e32 v128, 0x3f116cb1, v92
	v_add_f32_e32 v22, v26, v22
	v_add_f32_e32 v24, v20, v24
	v_fma_f32 v26, v108, s9, -v150
	v_mov_b32_e32 v154, v153
	v_add_f32_e32 v83, v21, v83
	v_fma_f32 v84, v92, s2, -v84
	v_fmac_f32_e32 v91, 0x3eedf032, v93
	v_mov_b32_e32 v92, v128
	v_add_f32_e32 v24, v26, v24
	v_fma_f32 v26, v111, s11, -v151
	v_fmac_f32_e32 v154, 0xbeb58ec6, v117
	v_add_f32_e32 v83, v84, v83
	v_fma_f32 v84, v96, s10, -v133
	v_add_f32_e32 v91, v21, v91
	v_fmac_f32_e32 v92, 0x3f52af12, v94
	v_mul_f32_e32 v96, 0x3df6dbef, v96
	v_add_f32_e32 v24, v26, v24
	v_fma_f32 v26, v114, s10, -v152
	v_add_f32_e32 v81, v154, v81
	v_mul_f32_e32 v154, 0x3f7e222b, v121
	v_add_f32_e32 v91, v92, v91
	v_mov_b32_e32 v92, v96
	v_add_f32_e32 v24, v26, v24
	v_fma_f32 v26, v117, s8, -v153
	v_add_f32_e32 v83, v84, v83
	v_fma_f32 v84, v98, s3, -v134
	v_fmac_f32_e32 v92, 0x3f7e222b, v95
	v_mul_f32_e32 v98, 0xbeb58ec6, v98
	v_add_f32_e32 v24, v26, v24
	v_fma_f32 v26, v120, s2, -v154
	v_fmac_f32_e32 v100, 0xbf52af12, v93
	v_add_f32_e32 v91, v92, v91
	v_mov_b32_e32 v92, v98
	v_add_f32_e32 v24, v26, v24
	v_add_f32_e32 v26, v21, v100
	v_fmac_f32_e32 v103, 0xbf6f5d39, v94
	v_add_f32_e32 v83, v84, v83
	v_fma_f32 v84, v101, s9, -v135
	v_fmac_f32_e32 v92, 0x3f6f5d39, v97
	v_mul_f32_e32 v101, 0xbf3f9e67, v101
	v_add_f32_e32 v26, v103, v26
	v_fmac_f32_e32 v107, 0xbe750f2a, v95
	v_add_f32_e32 v91, v92, v91
	v_mov_b32_e32 v92, v101
	v_add_f32_e32 v26, v107, v26
	v_fmac_f32_e32 v110, 0x3f29c268, v97
	v_add_f32_e32 v83, v84, v83
	v_fma_f32 v84, v104, s8, -v136
	v_fmac_f32_e32 v92, 0x3f29c268, v99
	v_mul_f32_e32 v104, 0xbf788fa5, v104
	v_add_f32_e32 v26, v110, v26
	v_fmac_f32_e32 v113, 0x3f7e222b, v99
	v_add_f32_e32 v91, v92, v91
	v_mov_b32_e32 v92, v104
	v_add_f32_e32 v26, v113, v26
	v_fmac_f32_e32 v116, 0x3eedf032, v102
	v_fmac_f32_e32 v92, 0x3e750f2a, v102
	v_mul_f32_e32 v106, 0xbeedf032, v106
	v_add_f32_e32 v23, v27, v23
	v_add_f32_e32 v27, v116, v26
	v_fma_f32 v26, v105, s10, -v119
	v_fmac_f32_e32 v129, 0x3f62ad3f, v111
	v_add_f32_e32 v92, v92, v91
	v_mov_b32_e32 v91, v106
	v_mul_f32_e32 v109, 0xbf52af12, v109
	v_add_f32_e32 v22, v28, v22
	v_add_f32_e32 v26, v20, v26
	v_fma_f32 v28, v108, s8, -v122
	v_add_f32_e32 v85, v129, v85
	v_fmac_f32_e32 v91, 0x3f62ad3f, v105
	v_mov_b32_e32 v129, v109
	v_add_f32_e32 v26, v28, v26
	v_fma_f32 v28, v111, s3, -v123
	v_add_f32_e32 v91, v20, v91
	v_fmac_f32_e32 v129, 0x3f116cb1, v108
	v_mul_f32_e32 v112, 0xbf7e222b, v112
	v_add_f32_e32 v26, v28, v26
	v_fma_f32 v28, v114, s11, -v124
	v_add_f32_e32 v91, v129, v91
	v_mov_b32_e32 v129, v112
	v_add_f32_e32 v23, v29, v23
	v_add_f32_e32 v26, v28, v26
	v_fma_f32 v28, v117, s2, -v125
	v_fmac_f32_e32 v129, 0x3df6dbef, v111
	v_mul_f32_e32 v115, 0xbf6f5d39, v115
	v_add_f32_e32 v23, v31, v23
	v_add_f32_e32 v22, v30, v22
	;; [unrolled: 1-line block ×3, first 2 shown]
	v_fma_f32 v28, v120, s9, -v126
	v_fmac_f32_e32 v137, 0xbf3f9e67, v105
	v_add_f32_e32 v91, v129, v91
	v_mov_b32_e32 v129, v115
	v_add_f32_e32 v23, v33, v23
	v_add_f32_e32 v22, v32, v22
	;; [unrolled: 1-line block ×3, first 2 shown]
	v_fma_f32 v28, v105, s9, -v106
	v_add_f32_e32 v84, v84, v83
	v_add_f32_e32 v83, v20, v137
	v_fmac_f32_e32 v129, 0xbeb58ec6, v114
	v_mul_f32_e32 v118, 0xbf29c268, v118
	v_add_f32_e32 v23, v35, v23
	v_add_f32_e32 v22, v34, v22
	v_fmac_f32_e32 v127, 0xbeedf032, v93
	v_add_f32_e32 v20, v20, v28
	v_fma_f32 v28, v108, s10, -v109
	v_fmac_f32_e32 v138, 0x3df6dbef, v108
	v_add_f32_e32 v91, v129, v91
	v_mov_b32_e32 v129, v118
	v_add_f32_e32 v23, v37, v23
	v_add_f32_e32 v22, v36, v22
	;; [unrolled: 1-line block ×3, first 2 shown]
	v_fmac_f32_e32 v128, 0xbf52af12, v94
	v_add_f32_e32 v20, v28, v20
	v_fma_f32 v28, v111, s2, -v112
	v_add_f32_e32 v83, v138, v83
	v_fmac_f32_e32 v139, 0x3f116cb1, v111
	v_fmac_f32_e32 v129, 0xbf3f9e67, v117
	v_mul_f32_e32 v121, 0xbe750f2a, v121
	v_add_f32_e32 v23, v39, v23
	v_add_f32_e32 v22, v38, v22
	;; [unrolled: 1-line block ×3, first 2 shown]
	v_fmac_f32_e32 v96, 0xbf7e222b, v95
	v_add_f32_e32 v20, v28, v20
	v_fma_f32 v28, v114, s8, -v115
	v_add_f32_e32 v83, v139, v83
	v_fmac_f32_e32 v140, 0xbf788fa5, v114
	v_fmac_f32_e32 v130, 0x3df6dbef, v114
	v_add_f32_e32 v91, v129, v91
	v_mov_b32_e32 v129, v121
	v_add_f32_e32 v23, v41, v23
	v_add_f32_e32 v22, v40, v22
	;; [unrolled: 1-line block ×3, first 2 shown]
	v_fmac_f32_e32 v98, 0xbf6f5d39, v97
	v_add_f32_e32 v20, v28, v20
	v_fma_f32 v28, v117, s11, -v118
	v_mov_b32_e32 v155, v154
	v_add_f32_e32 v83, v140, v83
	v_fmac_f32_e32 v141, 0x3f62ad3f, v117
	v_add_f32_e32 v85, v130, v85
	v_fmac_f32_e32 v131, 0xbf788fa5, v117
	v_fmac_f32_e32 v129, 0xbf788fa5, v120
	v_add_f32_e32 v23, v43, v23
	v_add_f32_e32 v22, v42, v22
	;; [unrolled: 1-line block ×3, first 2 shown]
	v_fmac_f32_e32 v101, 0xbf29c268, v99
	v_add_f32_e32 v20, v28, v20
	v_fma_f32 v28, v120, s3, -v121
	v_fmac_f32_e32 v155, 0x3df6dbef, v120
	v_add_f32_e32 v83, v141, v83
	v_fmac_f32_e32 v142, 0xbeb58ec6, v120
	v_add_f32_e32 v85, v131, v85
	;; [unrolled: 2-line block ×3, first 2 shown]
	v_add_f32_e32 v23, v46, v23
	v_add_f32_e32 v22, v45, v22
	;; [unrolled: 1-line block ×3, first 2 shown]
	v_fmac_f32_e32 v104, 0xbe750f2a, v102
	v_add_f32_e32 v20, v28, v20
	v_lshlrev_b32_e32 v28, 3, v69
	v_add_f32_e32 v81, v155, v81
	v_add_f32_e32 v83, v142, v83
	;; [unrolled: 1-line block ×4, first 2 shown]
	ds_write2_b64 v28, v[22:23], v[91:92] offset1:1
	ds_write2_b64 v28, v[89:90], v[87:88] offset0:2 offset1:3
	ds_write2_b64 v28, v[85:86], v[83:84] offset0:4 offset1:5
	ds_write2_b64 v28, v[81:82], v[24:25] offset0:6 offset1:7
	ds_write2_b64 v28, v[79:80], v[77:78] offset0:8 offset1:9
	ds_write2_b64 v28, v[75:76], v[26:27] offset0:10 offset1:11
	ds_write_b64 v28, v[20:21] offset:96
.LBB0_13:
	s_or_b64 exec, exec, s[0:1]
	s_waitcnt lgkmcnt(0)
	; wave barrier
	s_waitcnt lgkmcnt(0)
	ds_read2_b64 v[20:23], v70 offset1:52
	ds_read2_b64 v[24:27], v70 offset0:104 offset1:156
	v_add_u32_e32 v45, 0x800, v70
	v_add_u32_e32 v46, 0x400, v70
	ds_read2_b64 v[28:31], v45 offset0:56 offset1:108
	ds_read2_b64 v[32:35], v45 offset0:160 offset1:212
	;; [unrolled: 1-line block ×3, first 2 shown]
	v_add_u32_e32 v69, 0x1000, v70
	ds_read2_b64 v[40:43], v69 offset0:8 offset1:60
	s_waitcnt lgkmcnt(4)
	v_mul_f32_e32 v75, v9, v27
	v_mul_f32_e32 v9, v9, v26
	v_fmac_f32_e32 v75, v8, v26
	v_fma_f32 v8, v8, v27, -v9
	s_waitcnt lgkmcnt(3)
	v_mul_f32_e32 v9, v11, v29
	v_mul_f32_e32 v11, v11, v28
	s_waitcnt lgkmcnt(1)
	v_mul_f32_e32 v27, v1, v37
	v_mul_f32_e32 v1, v1, v36
	v_fmac_f32_e32 v9, v10, v28
	v_fma_f32 v10, v10, v29, -v11
	v_fmac_f32_e32 v27, v0, v36
	v_fma_f32 v28, v0, v37, -v1
	v_mul_f32_e32 v29, v3, v31
	v_mul_f32_e32 v0, v3, v30
	;; [unrolled: 1-line block ×3, first 2 shown]
	v_fmac_f32_e32 v29, v2, v30
	v_fma_f32 v30, v2, v31, -v0
	s_waitcnt lgkmcnt(0)
	v_mul_f32_e32 v0, v52, v40
	v_fmac_f32_e32 v11, v47, v34
	v_mul_f32_e32 v26, v48, v34
	v_mul_f32_e32 v31, v52, v41
	v_fma_f32 v34, v51, v41, -v0
	v_mul_f32_e32 v0, v5, v38
	v_fma_f32 v26, v47, v35, -v26
	v_fmac_f32_e32 v31, v51, v40
	v_mul_f32_e32 v35, v5, v39
	v_fma_f32 v36, v4, v39, -v0
	v_mul_f32_e32 v37, v7, v33
	v_mul_f32_e32 v0, v7, v32
	v_sub_f32_e32 v7, v21, v10
	v_fmac_f32_e32 v35, v4, v38
	v_fmac_f32_e32 v37, v6, v32
	v_fma_f32 v32, v6, v33, -v0
	v_mul_f32_e32 v33, v50, v43
	v_mul_f32_e32 v0, v50, v42
	v_sub_f32_e32 v6, v20, v9
	v_fma_f32 v3, v21, 2.0, -v7
	v_sub_f32_e32 v4, v8, v26
	v_sub_f32_e32 v26, v22, v29
	;; [unrolled: 1-line block ×4, first 2 shown]
	v_fmac_f32_e32 v33, v49, v42
	v_fma_f32 v38, v49, v43, -v0
	v_fma_f32 v2, v20, 2.0, -v6
	v_fma_f32 v1, v8, 2.0, -v4
	v_sub_f32_e32 v20, v28, v34
	v_fma_f32 v8, v27, 2.0, -v21
	v_sub_f32_e32 v21, v29, v21
	v_sub_f32_e32 v5, v75, v11
	v_fma_f32 v11, v23, 2.0, -v29
	v_fma_f32 v9, v28, 2.0, -v20
	v_add_f32_e32 v20, v26, v20
	v_fma_f32 v23, v29, 2.0, -v21
	v_sub_f32_e32 v30, v24, v37
	v_sub_f32_e32 v31, v25, v32
	;; [unrolled: 1-line block ×4, first 2 shown]
	v_fma_f32 v0, v75, 2.0, -v5
	v_fma_f32 v10, v22, 2.0, -v26
	;; [unrolled: 1-line block ×7, first 2 shown]
	v_sub_f32_e32 v0, v2, v0
	v_sub_f32_e32 v1, v3, v1
	v_add_f32_e32 v4, v6, v4
	v_sub_f32_e32 v5, v7, v5
	v_sub_f32_e32 v8, v10, v8
	v_sub_f32_e32 v9, v11, v9
	v_sub_f32_e32 v24, v26, v24
	v_sub_f32_e32 v25, v27, v25
	v_add_f32_e32 v28, v30, v28
	v_sub_f32_e32 v29, v31, v29
	v_fma_f32 v2, v2, 2.0, -v0
	v_fma_f32 v3, v3, 2.0, -v1
	;; [unrolled: 1-line block ×10, first 2 shown]
	s_waitcnt lgkmcnt(0)
	; wave barrier
	ds_write2_b64 v72, v[2:3], v[6:7] offset1:13
	ds_write2_b64 v72, v[0:1], v[4:5] offset0:26 offset1:39
	ds_write2_b64 v73, v[10:11], v[22:23] offset1:13
	ds_write2_b64 v73, v[8:9], v[20:21] offset0:26 offset1:39
	;; [unrolled: 2-line block ×3, first 2 shown]
	s_waitcnt lgkmcnt(0)
	; wave barrier
	s_waitcnt lgkmcnt(0)
	ds_read2_b64 v[0:3], v70 offset1:52
	ds_read2_b64 v[4:7], v70 offset0:104 offset1:156
	ds_read2_b64 v[8:11], v46 offset0:80 offset1:132
	;; [unrolled: 1-line block ×5, first 2 shown]
	s_waitcnt lgkmcnt(4)
	v_mul_f32_e32 v32, v17, v5
	v_fmac_f32_e32 v32, v16, v4
	v_mul_f32_e32 v4, v17, v4
	v_fma_f32 v33, v16, v5, -v4
	s_waitcnt lgkmcnt(3)
	v_mul_f32_e32 v4, v19, v9
	v_fmac_f32_e32 v4, v18, v8
	v_mul_f32_e32 v5, v19, v8
	s_waitcnt lgkmcnt(2)
	v_mul_f32_e32 v8, v13, v21
	v_fma_f32 v5, v18, v9, -v5
	v_fmac_f32_e32 v8, v12, v20
	v_mul_f32_e32 v9, v13, v20
	s_waitcnt lgkmcnt(1)
	v_mul_f32_e32 v20, v15, v25
	v_fma_f32 v9, v12, v21, -v9
	;; [unrolled: 5-line block ×3, first 2 shown]
	v_fmac_f32_e32 v24, v53, v28
	v_mul_f32_e32 v25, v54, v28
	v_mul_f32_e32 v28, v17, v7
	v_fmac_f32_e32 v28, v16, v6
	v_mul_f32_e32 v6, v17, v6
	v_fma_f32 v25, v53, v29, -v25
	v_fma_f32 v29, v16, v7, -v6
	v_mul_f32_e32 v16, v19, v11
	v_mul_f32_e32 v6, v19, v10
	v_fmac_f32_e32 v16, v18, v10
	v_fma_f32 v17, v18, v11, -v6
	v_mul_f32_e32 v18, v13, v23
	v_mul_f32_e32 v6, v13, v22
	v_fmac_f32_e32 v18, v12, v22
	;; [unrolled: 4-line block ×3, first 2 shown]
	v_fma_f32 v14, v14, v27, -v6
	v_mul_f32_e32 v6, v54, v30
	v_fma_f32 v23, v53, v31, -v6
	v_add_f32_e32 v6, v0, v4
	v_add_f32_e32 v10, v6, v20
	;; [unrolled: 1-line block ×3, first 2 shown]
	v_fma_f32 v11, -0.5, v6, v0
	v_sub_f32_e32 v0, v5, v21
	v_mov_b32_e32 v12, v11
	v_fmac_f32_e32 v12, 0xbf5db3d7, v0
	v_fmac_f32_e32 v11, 0x3f5db3d7, v0
	v_add_f32_e32 v0, v1, v5
	v_add_f32_e32 v13, v0, v21
	;; [unrolled: 1-line block ×3, first 2 shown]
	v_fma_f32 v21, -0.5, v0, v1
	v_sub_f32_e32 v0, v4, v20
	v_mov_b32_e32 v20, v21
	v_fmac_f32_e32 v20, 0x3f5db3d7, v0
	v_fmac_f32_e32 v21, 0xbf5db3d7, v0
	v_add_f32_e32 v0, v32, v8
	v_add_f32_e32 v26, v0, v24
	;; [unrolled: 1-line block ×3, first 2 shown]
	v_fmac_f32_e32 v32, -0.5, v0
	v_sub_f32_e32 v0, v9, v25
	v_mov_b32_e32 v5, v32
	v_fmac_f32_e32 v5, 0xbf5db3d7, v0
	v_fmac_f32_e32 v32, 0x3f5db3d7, v0
	v_add_f32_e32 v0, v33, v9
	v_add_f32_e32 v27, v0, v25
	v_add_f32_e32 v0, v9, v25
	v_fmac_f32_e32 v33, -0.5, v0
	v_sub_f32_e32 v0, v8, v24
	v_mov_b32_e32 v7, v33
	v_mul_f32_e32 v15, v54, v31
	v_fmac_f32_e32 v7, 0x3f5db3d7, v0
	v_fmac_f32_e32 v33, 0xbf5db3d7, v0
	;; [unrolled: 1-line block ×3, first 2 shown]
	v_mul_f32_e32 v9, 0xbf5db3d7, v7
	v_mul_f32_e32 v30, -0.5, v33
	v_fmac_f32_e32 v9, 0.5, v5
	v_mul_f32_e32 v24, 0xbf5db3d7, v33
	v_mul_f32_e32 v25, 0.5, v7
	v_fmac_f32_e32 v30, 0x3f5db3d7, v32
	v_add_f32_e32 v0, v10, v26
	v_add_f32_e32 v4, v12, v9
	v_fmac_f32_e32 v24, -0.5, v32
	v_add_f32_e32 v1, v13, v27
	v_fmac_f32_e32 v25, 0x3f5db3d7, v5
	v_add_f32_e32 v7, v21, v30
	v_sub_f32_e32 v8, v10, v26
	v_sub_f32_e32 v10, v12, v9
	;; [unrolled: 1-line block ×4, first 2 shown]
	v_add_f32_e32 v21, v16, v22
	v_add_f32_e32 v6, v11, v24
	;; [unrolled: 1-line block ×3, first 2 shown]
	v_sub_f32_e32 v12, v11, v24
	v_sub_f32_e32 v11, v20, v25
	v_add_f32_e32 v20, v2, v16
	v_fma_f32 v2, -0.5, v21, v2
	v_sub_f32_e32 v21, v17, v14
	v_mov_b32_e32 v24, v2
	v_fmac_f32_e32 v24, 0xbf5db3d7, v21
	v_fmac_f32_e32 v2, 0x3f5db3d7, v21
	v_add_f32_e32 v21, v3, v17
	v_add_f32_e32 v21, v21, v14
	;; [unrolled: 1-line block ×3, first 2 shown]
	v_fmac_f32_e32 v3, -0.5, v14
	v_sub_f32_e32 v14, v16, v22
	v_mov_b32_e32 v25, v3
	v_fmac_f32_e32 v25, 0x3f5db3d7, v14
	v_fmac_f32_e32 v3, 0xbf5db3d7, v14
	v_add_f32_e32 v14, v28, v18
	v_add_f32_e32 v20, v20, v22
	;; [unrolled: 1-line block ×4, first 2 shown]
	v_fmac_f32_e32 v28, -0.5, v14
	v_sub_f32_e32 v14, v19, v23
	v_mov_b32_e32 v17, v28
	v_fmac_f32_e32 v17, 0xbf5db3d7, v14
	v_fmac_f32_e32 v28, 0x3f5db3d7, v14
	v_add_f32_e32 v14, v29, v19
	v_add_f32_e32 v26, v14, v23
	;; [unrolled: 1-line block ×3, first 2 shown]
	v_fmac_f32_e32 v29, -0.5, v14
	v_sub_f32_e32 v14, v18, v15
	v_mov_b32_e32 v19, v29
	v_fmac_f32_e32 v19, 0x3f5db3d7, v14
	v_fmac_f32_e32 v29, 0xbf5db3d7, v14
	v_mul_f32_e32 v23, 0xbf5db3d7, v19
	v_mul_f32_e32 v27, 0xbf5db3d7, v29
	v_mul_f32_e32 v30, 0.5, v19
	v_mul_f32_e32 v29, -0.5, v29
	v_fmac_f32_e32 v23, 0.5, v17
	v_fmac_f32_e32 v27, -0.5, v28
	v_fmac_f32_e32 v30, 0x3f5db3d7, v17
	v_fmac_f32_e32 v29, 0x3f5db3d7, v28
	v_add_f32_e32 v14, v20, v22
	v_add_f32_e32 v16, v24, v23
	;; [unrolled: 1-line block ×6, first 2 shown]
	v_sub_f32_e32 v20, v20, v22
	v_sub_f32_e32 v22, v24, v23
	;; [unrolled: 1-line block ×6, first 2 shown]
	s_waitcnt lgkmcnt(0)
	; wave barrier
	ds_write2_b64 v70, v[0:1], v[4:5] offset1:52
	ds_write2_b64 v70, v[6:7], v[8:9] offset0:104 offset1:156
	ds_write2_b64 v46, v[10:11], v[12:13] offset0:80 offset1:132
	;; [unrolled: 1-line block ×5, first 2 shown]
	s_waitcnt lgkmcnt(0)
	; wave barrier
	s_waitcnt lgkmcnt(0)
	ds_read2_b64 v[0:3], v70 offset1:52
	ds_read2_b64 v[4:7], v45 offset0:56 offset1:108
	ds_read2_b64 v[8:11], v70 offset0:104 offset1:156
	;; [unrolled: 1-line block ×5, first 2 shown]
	s_waitcnt lgkmcnt(4)
	v_mul_f32_e32 v24, v56, v5
	v_fmac_f32_e32 v24, v55, v4
	v_mul_f32_e32 v4, v56, v4
	v_fma_f32 v5, v55, v5, -v4
	v_mul_f32_e32 v4, v58, v6
	v_mul_f32_e32 v25, v58, v7
	v_fma_f32 v7, v57, v7, -v4
	s_waitcnt lgkmcnt(2)
	v_mul_f32_e32 v4, v60, v12
	v_mul_f32_e32 v26, v60, v13
	v_fma_f32 v13, v59, v13, -v4
	v_mul_f32_e32 v4, v62, v14
	v_mul_f32_e32 v27, v62, v15
	v_fma_f32 v15, v61, v15, -v4
	s_waitcnt lgkmcnt(0)
	v_mul_f32_e32 v4, v64, v20
	v_fmac_f32_e32 v25, v57, v6
	v_mul_f32_e32 v28, v64, v21
	v_fma_f32 v21, v63, v21, -v4
	v_mul_f32_e32 v29, v66, v23
	v_mul_f32_e32 v4, v66, v22
	v_fmac_f32_e32 v26, v59, v12
	v_fmac_f32_e32 v27, v61, v14
	;; [unrolled: 1-line block ×4, first 2 shown]
	v_fma_f32 v23, v65, v23, -v4
	v_sub_f32_e32 v4, v0, v24
	v_sub_f32_e32 v5, v1, v5
	;; [unrolled: 1-line block ×4, first 2 shown]
	s_movk_i32 s2, 0x1000
	v_fma_f32 v0, v0, 2.0, -v4
	v_fma_f32 v1, v1, 2.0, -v5
	;; [unrolled: 1-line block ×4, first 2 shown]
	v_sub_f32_e32 v12, v8, v26
	v_sub_f32_e32 v13, v9, v13
	;; [unrolled: 1-line block ×8, first 2 shown]
	v_fma_f32 v8, v8, 2.0, -v12
	v_fma_f32 v9, v9, 2.0, -v13
	;; [unrolled: 1-line block ×8, first 2 shown]
	ds_write2_b64 v70, v[0:1], v[2:3] offset1:52
	ds_write2_b64 v45, v[4:5], v[6:7] offset0:56 offset1:108
	ds_write2_b64 v70, v[8:9], v[10:11] offset0:104 offset1:156
	ds_write2_b64 v45, v[12:13], v[14:15] offset0:160 offset1:212
	ds_write2_b64 v46, v[16:17], v[18:19] offset0:80 offset1:132
	ds_write2_b64 v69, v[20:21], v[22:23] offset0:8 offset1:60
	s_waitcnt lgkmcnt(0)
	; wave barrier
	s_waitcnt lgkmcnt(0)
	s_and_b64 exec, exec, vcc
	s_cbranch_execz .LBB0_15
; %bb.14:
	global_load_dwordx2 v[8:9], v68, s[12:13]
	global_load_dwordx2 v[10:11], v68, s[12:13] offset:384
	global_load_dwordx2 v[12:13], v68, s[12:13] offset:768
	;; [unrolled: 1-line block ×3, first 2 shown]
	ds_read_b64 v[18:19], v70
	ds_read2_b64 v[0:3], v71 offset0:48 offset1:96
	ds_read2_b64 v[4:7], v71 offset0:144 offset1:192
	global_load_dwordx2 v[22:23], v68, s[12:13] offset:1536
	global_load_dwordx2 v[24:25], v68, s[12:13] offset:1920
	;; [unrolled: 1-line block ×4, first 2 shown]
	v_mad_u64_u32 v[16:17], s[0:1], s6, v44, 0
	v_mov_b32_e32 v30, s13
	v_add_co_u32_e32 v31, vcc, s12, v68
	v_mad_u64_u32 v[20:21], s[8:9], s4, v67, 0
	v_addc_co_u32_e32 v32, vcc, 0, v30, vcc
	s_mul_i32 s6, s5, 0x180
	s_mul_hi_u32 s8, s4, 0x180
	v_add_co_u32_e32 v30, vcc, s2, v31
	s_add_i32 s6, s8, s6
	v_addc_co_u32_e32 v31, vcc, 0, v32, vcc
	s_waitcnt lgkmcnt(2)
	v_mad_u64_u32 v[32:33], s[8:9], s7, v44, v[17:18]
	v_or_b32_e32 v39, 0x240, v67
	v_mov_b32_e32 v38, s15
	v_mov_b32_e32 v17, v32
	v_lshlrev_b64 v[16:17], 3, v[16:17]
	v_lshlrev_b32_e32 v40, 3, v39
	s_mov_b32 s0, 0x1a41a41a
	s_mov_b32 s1, 0x3f5a41a4
	s_mul_i32 s3, s4, 0x180
	v_mov_b32_e32 v41, s6
	v_mov_b32_e32 v42, s6
	s_mul_i32 s2, s5, 0x300
	s_waitcnt vmcnt(7)
	v_mul_f32_e32 v32, v19, v9
	v_mul_f32_e32 v9, v18, v9
	v_fmac_f32_e32 v32, v18, v8
	v_fma_f32 v8, v8, v19, -v9
	s_waitcnt vmcnt(3)
	v_mad_u64_u32 v[33:34], s[8:9], s5, v67, v[21:22]
	global_load_dwordx2 v[34:35], v[30:31], off offset:128
	global_load_dwordx2 v[36:37], v40, s[12:13]
	v_add_co_u32_e32 v30, vcc, s14, v16
	v_mov_b32_e32 v21, v33
	v_addc_co_u32_e32 v31, vcc, v38, v17, vcc
	s_waitcnt lgkmcnt(1)
	v_mul_f32_e32 v33, v1, v11
	v_mul_f32_e32 v11, v0, v11
	;; [unrolled: 1-line block ×4, first 2 shown]
	s_waitcnt lgkmcnt(0)
	v_mul_f32_e32 v40, v5, v15
	v_mul_f32_e32 v15, v4, v15
	v_fmac_f32_e32 v33, v0, v10
	v_fma_f32 v9, v10, v1, -v11
	v_fmac_f32_e32 v38, v2, v12
	v_fma_f32 v12, v12, v3, -v13
	v_cvt_f64_f32_e32 v[0:1], v32
	v_cvt_f64_f32_e32 v[2:3], v8
	v_fmac_f32_e32 v40, v4, v14
	v_fma_f32 v18, v14, v5, -v15
	v_cvt_f64_f32_e32 v[4:5], v33
	v_cvt_f64_f32_e32 v[8:9], v9
	;; [unrolled: 1-line block ×4, first 2 shown]
	v_mul_f64 v[0:1], v[0:1], s[0:1]
	v_mul_f64 v[2:3], v[2:3], s[0:1]
	;; [unrolled: 1-line block ×6, first 2 shown]
	v_lshlrev_b64 v[20:21], 3, v[20:21]
	v_cvt_f64_f32_e32 v[14:15], v40
	v_add_co_u32_e32 v16, vcc, v30, v20
	v_cvt_f32_f64_e32 v0, v[0:1]
	v_cvt_f32_f64_e32 v1, v[2:3]
	v_addc_co_u32_e32 v17, vcc, v31, v21, vcc
	v_cvt_f32_f64_e32 v2, v[4:5]
	v_cvt_f32_f64_e32 v3, v[8:9]
	v_add_co_u32_e32 v20, vcc, s3, v16
	v_cvt_f32_f64_e32 v4, v[10:11]
	v_cvt_f32_f64_e32 v5, v[12:13]
	v_addc_co_u32_e32 v21, vcc, v17, v41, vcc
	global_store_dwordx2 v[16:17], v[0:1], off
	global_store_dwordx2 v[20:21], v[2:3], off
	v_add_co_u32_e32 v0, vcc, s3, v20
	v_addc_co_u32_e32 v1, vcc, v21, v42, vcc
	global_store_dwordx2 v[0:1], v[4:5], off
	global_load_dwordx2 v[4:5], v68, s[12:13] offset:3072
	v_cvt_f64_f32_e32 v[18:19], v18
	global_load_dwordx2 v[12:13], v68, s[12:13] offset:3456
	v_mul_f32_e32 v2, v7, v23
	v_fmac_f32_e32 v2, v6, v22
	v_mul_f64 v[14:15], v[14:15], s[0:1]
	v_mul_f64 v[18:19], v[18:19], s[0:1]
	v_cvt_f64_f32_e32 v[2:3], v2
	v_mul_f32_e32 v6, v6, v23
	v_fma_f32 v6, v22, v7, -v6
	v_cvt_f64_f32_e32 v[6:7], v6
	v_mul_f64 v[2:3], v[2:3], s[0:1]
	v_mov_b32_e32 v11, s6
	v_cvt_f32_f64_e32 v8, v[14:15]
	v_mul_f64 v[6:7], v[6:7], s[0:1]
	v_cvt_f32_f64_e32 v9, v[18:19]
	v_add_co_u32_e32 v10, vcc, s3, v0
	v_or_b32_e32 v16, 0xc0, v67
	v_addc_co_u32_e32 v11, vcc, v1, v11, vcc
	v_mad_u64_u32 v[14:15], s[8:9], s4, v16, 0
	v_add_u32_e32 v0, 0x400, v71
	global_store_dwordx2 v[10:11], v[8:9], off
	v_cvt_f32_f64_e32 v8, v[2:3]
	ds_read2_b64 v[0:3], v0 offset0:112 offset1:160
	v_cvt_f32_f64_e32 v9, v[6:7]
	v_mov_b32_e32 v6, v15
	v_mad_u64_u32 v[6:7], s[8:9], s5, v16, v[6:7]
	s_waitcnt vmcnt(10) lgkmcnt(0)
	v_mul_f32_e32 v7, v1, v25
	v_fmac_f32_e32 v7, v0, v24
	v_cvt_f64_f32_e32 v[16:17], v7
	v_mov_b32_e32 v15, v6
	v_lshlrev_b64 v[6:7], 3, v[14:15]
	v_mul_f32_e32 v0, v0, v25
	v_mul_f64 v[14:15], v[16:17], s[0:1]
	global_load_dwordx2 v[16:17], v68, s[12:13] offset:3840
	v_fma_f32 v0, v24, v1, -v0
	v_cvt_f64_f32_e32 v[0:1], v0
	v_add_co_u32_e32 v6, vcc, v30, v6
	v_addc_co_u32_e32 v7, vcc, v31, v7, vcc
	v_mul_f64 v[0:1], v[0:1], s[0:1]
	global_store_dwordx2 v[6:7], v[8:9], off
	v_mov_b32_e32 v18, 0x300
	v_mad_u64_u32 v[8:9], s[8:9], s4, v18, v[10:11]
	v_add_u32_e32 v19, 0x800, v71
	v_cvt_f32_f64_e32 v6, v[14:15]
	v_add_u32_e32 v9, s2, v9
	v_cvt_f32_f64_e32 v7, v[0:1]
	s_waitcnt vmcnt(11)
	v_mul_f32_e32 v0, v3, v27
	v_fmac_f32_e32 v0, v2, v26
	v_cvt_f64_f32_e32 v[10:11], v0
	v_mul_f32_e32 v0, v2, v27
	v_fma_f32 v0, v26, v3, -v0
	v_cvt_f64_f32_e32 v[14:15], v0
	ds_read2_b64 v[0:3], v19 offset0:80 offset1:128
	global_store_dwordx2 v[8:9], v[6:7], off
	v_mul_f64 v[6:7], v[10:11], s[0:1]
	v_mul_f64 v[10:11], v[14:15], s[0:1]
	v_add_co_u32_e32 v8, vcc, s3, v8
	s_waitcnt vmcnt(11) lgkmcnt(0)
	v_mul_f32_e32 v14, v1, v29
	v_fmac_f32_e32 v14, v0, v28
	v_mul_f32_e32 v0, v0, v29
	v_fma_f32 v0, v28, v1, -v0
	v_cvt_f64_f32_e32 v[0:1], v0
	v_cvt_f64_f32_e32 v[14:15], v14
	v_cvt_f32_f64_e32 v6, v[6:7]
	v_cvt_f32_f64_e32 v7, v[10:11]
	v_mul_f64 v[0:1], v[0:1], s[0:1]
	v_mul_f64 v[10:11], v[14:15], s[0:1]
	v_mov_b32_e32 v14, s6
	v_addc_co_u32_e32 v9, vcc, v9, v14, vcc
	global_store_dwordx2 v[8:9], v[6:7], off
	v_add_co_u32_e32 v8, vcc, s3, v8
	v_cvt_f32_f64_e32 v7, v[0:1]
	s_waitcnt vmcnt(6)
	v_mul_f32_e32 v0, v3, v5
	v_fmac_f32_e32 v0, v2, v4
	v_cvt_f64_f32_e32 v[0:1], v0
	v_cvt_f32_f64_e32 v6, v[10:11]
	v_mov_b32_e32 v10, s6
	v_addc_co_u32_e32 v9, vcc, v9, v10, vcc
	v_mul_f64 v[10:11], v[0:1], s[0:1]
	v_mul_f32_e32 v0, v2, v5
	v_fma_f32 v0, v4, v3, -v0
	v_cvt_f64_f32_e32 v[4:5], v0
	ds_read2_b64 v[0:3], v19 offset0:176 offset1:224
	global_store_dwordx2 v[8:9], v[6:7], off
	v_or_b32_e32 v20, 0x180, v67
	v_mul_f64 v[4:5], v[4:5], s[0:1]
	v_cvt_f32_f64_e32 v6, v[10:11]
	s_waitcnt vmcnt(6) lgkmcnt(0)
	v_mul_f32_e32 v10, v1, v13
	v_fmac_f32_e32 v10, v0, v12
	v_mul_f32_e32 v0, v0, v13
	v_mad_u64_u32 v[14:15], s[8:9], s4, v20, 0
	v_fma_f32 v0, v12, v1, -v0
	v_cvt_f64_f32_e32 v[10:11], v10
	v_cvt_f64_f32_e32 v[0:1], v0
	v_mov_b32_e32 v7, v15
	v_mad_u64_u32 v[12:13], s[8:9], s5, v20, v[7:8]
	v_cvt_f32_f64_e32 v7, v[4:5]
	v_mul_f64 v[4:5], v[10:11], s[0:1]
	v_mul_f64 v[0:1], v[0:1], s[0:1]
	v_mov_b32_e32 v15, v12
	v_lshlrev_b64 v[10:11], 3, v[14:15]
	v_mad_u64_u32 v[8:9], s[8:9], s4, v18, v[8:9]
	v_add_co_u32_e32 v10, vcc, v30, v10
	v_cvt_f32_f64_e32 v4, v[4:5]
	v_cvt_f32_f64_e32 v5, v[0:1]
	s_waitcnt vmcnt(4)
	v_mul_f32_e32 v0, v3, v17
	v_fmac_f32_e32 v0, v2, v16
	v_cvt_f64_f32_e32 v[0:1], v0
	v_mul_f32_e32 v2, v2, v17
	v_fma_f32 v2, v16, v3, -v2
	v_cvt_f64_f32_e32 v[12:13], v2
	v_mul_f64 v[14:15], v[0:1], s[0:1]
	v_add_u32_e32 v0, 0x1000, v71
	ds_read2_b64 v[0:3], v0 offset0:16 offset1:64
	v_addc_co_u32_e32 v11, vcc, v31, v11, vcc
	v_add_u32_e32 v9, s2, v9
	global_store_dwordx2 v[10:11], v[6:7], off
	global_store_dwordx2 v[8:9], v[4:5], off
	s_waitcnt lgkmcnt(0)
	v_mul_f32_e32 v4, v1, v35
	v_fmac_f32_e32 v4, v0, v34
	v_cvt_f64_f32_e32 v[4:5], v4
	v_mul_f64 v[12:13], v[12:13], s[0:1]
	v_mul_f32_e32 v0, v0, v35
	v_fma_f32 v0, v34, v1, -v0
	v_mul_f64 v[4:5], v[4:5], s[0:1]
	v_cvt_f64_f32_e32 v[0:1], v0
	v_cvt_f32_f64_e32 v6, v[14:15]
	v_mov_b32_e32 v10, s6
	v_add_co_u32_e32 v8, vcc, s3, v8
	v_cvt_f32_f64_e32 v7, v[12:13]
	v_mul_f64 v[0:1], v[0:1], s[0:1]
	v_cvt_f32_f64_e32 v4, v[4:5]
	v_mul_f32_e32 v5, v3, v37
	v_fmac_f32_e32 v5, v2, v36
	v_mul_f32_e32 v2, v2, v37
	v_addc_co_u32_e32 v9, vcc, v9, v10, vcc
	v_fma_f32 v2, v36, v3, -v2
	global_store_dwordx2 v[8:9], v[6:7], off
	v_cvt_f64_f32_e32 v[6:7], v5
	v_cvt_f64_f32_e32 v[2:3], v2
	v_cvt_f32_f64_e32 v5, v[0:1]
	v_add_co_u32_e32 v8, vcc, s3, v8
	v_mul_f64 v[0:1], v[6:7], s[0:1]
	v_mul_f64 v[2:3], v[2:3], s[0:1]
	v_mad_u64_u32 v[6:7], s[0:1], s4, v39, 0
	v_addc_co_u32_e32 v9, vcc, v9, v10, vcc
	v_mad_u64_u32 v[10:11], s[0:1], s5, v39, v[7:8]
	v_cvt_f32_f64_e32 v0, v[0:1]
	v_cvt_f32_f64_e32 v1, v[2:3]
	v_mov_b32_e32 v7, v10
	v_lshlrev_b64 v[2:3], 3, v[6:7]
	global_store_dwordx2 v[8:9], v[4:5], off
	v_add_co_u32_e32 v2, vcc, v30, v2
	v_addc_co_u32_e32 v3, vcc, v31, v3, vcc
	global_store_dwordx2 v[2:3], v[0:1], off
.LBB0_15:
	s_endpgm
	.section	.rodata,"a",@progbits
	.p2align	6, 0x0
	.amdhsa_kernel bluestein_single_fwd_len624_dim1_sp_op_CI_CI
		.amdhsa_group_segment_fixed_size 4992
		.amdhsa_private_segment_fixed_size 0
		.amdhsa_kernarg_size 104
		.amdhsa_user_sgpr_count 6
		.amdhsa_user_sgpr_private_segment_buffer 1
		.amdhsa_user_sgpr_dispatch_ptr 0
		.amdhsa_user_sgpr_queue_ptr 0
		.amdhsa_user_sgpr_kernarg_segment_ptr 1
		.amdhsa_user_sgpr_dispatch_id 0
		.amdhsa_user_sgpr_flat_scratch_init 0
		.amdhsa_user_sgpr_private_segment_size 0
		.amdhsa_uses_dynamic_stack 0
		.amdhsa_system_sgpr_private_segment_wavefront_offset 0
		.amdhsa_system_sgpr_workgroup_id_x 1
		.amdhsa_system_sgpr_workgroup_id_y 0
		.amdhsa_system_sgpr_workgroup_id_z 0
		.amdhsa_system_sgpr_workgroup_info 0
		.amdhsa_system_vgpr_workitem_id 0
		.amdhsa_next_free_vgpr 156
		.amdhsa_next_free_sgpr 16
		.amdhsa_reserve_vcc 1
		.amdhsa_reserve_flat_scratch 0
		.amdhsa_float_round_mode_32 0
		.amdhsa_float_round_mode_16_64 0
		.amdhsa_float_denorm_mode_32 3
		.amdhsa_float_denorm_mode_16_64 3
		.amdhsa_dx10_clamp 1
		.amdhsa_ieee_mode 1
		.amdhsa_fp16_overflow 0
		.amdhsa_exception_fp_ieee_invalid_op 0
		.amdhsa_exception_fp_denorm_src 0
		.amdhsa_exception_fp_ieee_div_zero 0
		.amdhsa_exception_fp_ieee_overflow 0
		.amdhsa_exception_fp_ieee_underflow 0
		.amdhsa_exception_fp_ieee_inexact 0
		.amdhsa_exception_int_div_zero 0
	.end_amdhsa_kernel
	.text
.Lfunc_end0:
	.size	bluestein_single_fwd_len624_dim1_sp_op_CI_CI, .Lfunc_end0-bluestein_single_fwd_len624_dim1_sp_op_CI_CI
                                        ; -- End function
	.section	.AMDGPU.csdata,"",@progbits
; Kernel info:
; codeLenInByte = 13288
; NumSgprs: 20
; NumVgprs: 156
; ScratchSize: 0
; MemoryBound: 0
; FloatMode: 240
; IeeeMode: 1
; LDSByteSize: 4992 bytes/workgroup (compile time only)
; SGPRBlocks: 2
; VGPRBlocks: 38
; NumSGPRsForWavesPerEU: 20
; NumVGPRsForWavesPerEU: 156
; Occupancy: 1
; WaveLimiterHint : 1
; COMPUTE_PGM_RSRC2:SCRATCH_EN: 0
; COMPUTE_PGM_RSRC2:USER_SGPR: 6
; COMPUTE_PGM_RSRC2:TRAP_HANDLER: 0
; COMPUTE_PGM_RSRC2:TGID_X_EN: 1
; COMPUTE_PGM_RSRC2:TGID_Y_EN: 0
; COMPUTE_PGM_RSRC2:TGID_Z_EN: 0
; COMPUTE_PGM_RSRC2:TIDIG_COMP_CNT: 0
	.type	__hip_cuid_3759ee45c5eb00e,@object ; @__hip_cuid_3759ee45c5eb00e
	.section	.bss,"aw",@nobits
	.globl	__hip_cuid_3759ee45c5eb00e
__hip_cuid_3759ee45c5eb00e:
	.byte	0                               ; 0x0
	.size	__hip_cuid_3759ee45c5eb00e, 1

	.ident	"AMD clang version 19.0.0git (https://github.com/RadeonOpenCompute/llvm-project roc-6.4.0 25133 c7fe45cf4b819c5991fe208aaa96edf142730f1d)"
	.section	".note.GNU-stack","",@progbits
	.addrsig
	.addrsig_sym __hip_cuid_3759ee45c5eb00e
	.amdgpu_metadata
---
amdhsa.kernels:
  - .args:
      - .actual_access:  read_only
        .address_space:  global
        .offset:         0
        .size:           8
        .value_kind:     global_buffer
      - .actual_access:  read_only
        .address_space:  global
        .offset:         8
        .size:           8
        .value_kind:     global_buffer
      - .actual_access:  read_only
        .address_space:  global
        .offset:         16
        .size:           8
        .value_kind:     global_buffer
      - .actual_access:  read_only
        .address_space:  global
        .offset:         24
        .size:           8
        .value_kind:     global_buffer
      - .actual_access:  read_only
        .address_space:  global
        .offset:         32
        .size:           8
        .value_kind:     global_buffer
      - .offset:         40
        .size:           8
        .value_kind:     by_value
      - .address_space:  global
        .offset:         48
        .size:           8
        .value_kind:     global_buffer
      - .address_space:  global
        .offset:         56
        .size:           8
        .value_kind:     global_buffer
      - .address_space:  global
        .offset:         64
        .size:           8
        .value_kind:     global_buffer
      - .address_space:  global
        .offset:         72
        .size:           8
        .value_kind:     global_buffer
      - .offset:         80
        .size:           4
        .value_kind:     by_value
      - .address_space:  global
        .offset:         88
        .size:           8
        .value_kind:     global_buffer
      - .address_space:  global
        .offset:         96
        .size:           8
        .value_kind:     global_buffer
    .group_segment_fixed_size: 4992
    .kernarg_segment_align: 8
    .kernarg_segment_size: 104
    .language:       OpenCL C
    .language_version:
      - 2
      - 0
    .max_flat_workgroup_size: 52
    .name:           bluestein_single_fwd_len624_dim1_sp_op_CI_CI
    .private_segment_fixed_size: 0
    .sgpr_count:     20
    .sgpr_spill_count: 0
    .symbol:         bluestein_single_fwd_len624_dim1_sp_op_CI_CI.kd
    .uniform_work_group_size: 1
    .uses_dynamic_stack: false
    .vgpr_count:     156
    .vgpr_spill_count: 0
    .wavefront_size: 64
amdhsa.target:   amdgcn-amd-amdhsa--gfx906
amdhsa.version:
  - 1
  - 2
...

	.end_amdgpu_metadata
